;; amdgpu-corpus repo=ROCm/rocFFT kind=compiled arch=gfx1030 opt=O3
	.text
	.amdgcn_target "amdgcn-amd-amdhsa--gfx1030"
	.amdhsa_code_object_version 6
	.protected	fft_rtc_fwd_len935_factors_17_11_5_wgs_255_tpt_85_halfLds_dp_ip_CI_sbrr_dirReg ; -- Begin function fft_rtc_fwd_len935_factors_17_11_5_wgs_255_tpt_85_halfLds_dp_ip_CI_sbrr_dirReg
	.globl	fft_rtc_fwd_len935_factors_17_11_5_wgs_255_tpt_85_halfLds_dp_ip_CI_sbrr_dirReg
	.p2align	8
	.type	fft_rtc_fwd_len935_factors_17_11_5_wgs_255_tpt_85_halfLds_dp_ip_CI_sbrr_dirReg,@function
fft_rtc_fwd_len935_factors_17_11_5_wgs_255_tpt_85_halfLds_dp_ip_CI_sbrr_dirReg: ; @fft_rtc_fwd_len935_factors_17_11_5_wgs_255_tpt_85_halfLds_dp_ip_CI_sbrr_dirReg
; %bb.0:
	s_clause 0x1
	s_load_dwordx2 s[14:15], s[4:5], 0x18
	s_load_dwordx4 s[8:11], s[4:5], 0x0
	v_mul_u32_u24_e32 v1, 0x304, v0
	v_mov_b32_e32 v5, 0
	v_mov_b32_e32 v3, 0
	v_mov_b32_e32 v4, 0
	s_load_dwordx2 s[12:13], s[4:5], 0x50
	s_waitcnt lgkmcnt(0)
	s_load_dwordx2 s[2:3], s[14:15], 0x0
	v_lshrrev_b32_e32 v1, 16, v1
	v_cmp_lt_u64_e64 s0, s[10:11], 2
	v_mad_u64_u32 v[1:2], null, s6, 3, v[1:2]
	v_mov_b32_e32 v2, v5
	s_and_b32 vcc_lo, exec_lo, s0
	v_mov_b32_e32 v10, v2
	v_mov_b32_e32 v9, v1
	s_cbranch_vccnz .LBB0_8
; %bb.1:
	s_load_dwordx2 s[0:1], s[4:5], 0x10
	v_mov_b32_e32 v3, 0
	v_mov_b32_e32 v8, v2
	s_add_u32 s6, s14, 8
	v_mov_b32_e32 v4, 0
	v_mov_b32_e32 v7, v1
	s_addc_u32 s7, s15, 0
	s_mov_b64 s[18:19], 1
	s_waitcnt lgkmcnt(0)
	s_add_u32 s16, s0, 8
	s_addc_u32 s17, s1, 0
.LBB0_2:                                ; =>This Inner Loop Header: Depth=1
	s_load_dwordx2 s[20:21], s[16:17], 0x0
                                        ; implicit-def: $vgpr9_vgpr10
	s_mov_b32 s0, exec_lo
	s_waitcnt lgkmcnt(0)
	v_or_b32_e32 v6, s21, v8
	v_cmpx_ne_u64_e32 0, v[5:6]
	s_xor_b32 s1, exec_lo, s0
	s_cbranch_execz .LBB0_4
; %bb.3:                                ;   in Loop: Header=BB0_2 Depth=1
	v_cvt_f32_u32_e32 v2, s20
	v_cvt_f32_u32_e32 v6, s21
	s_sub_u32 s0, 0, s20
	s_subb_u32 s22, 0, s21
	v_fmac_f32_e32 v2, 0x4f800000, v6
	v_rcp_f32_e32 v2, v2
	v_mul_f32_e32 v2, 0x5f7ffffc, v2
	v_mul_f32_e32 v6, 0x2f800000, v2
	v_trunc_f32_e32 v6, v6
	v_fmac_f32_e32 v2, 0xcf800000, v6
	v_cvt_u32_f32_e32 v6, v6
	v_cvt_u32_f32_e32 v2, v2
	v_mul_lo_u32 v9, s0, v6
	v_mul_hi_u32 v10, s0, v2
	v_mul_lo_u32 v11, s22, v2
	v_add_nc_u32_e32 v9, v10, v9
	v_mul_lo_u32 v10, s0, v2
	v_add_nc_u32_e32 v9, v9, v11
	v_mul_hi_u32 v11, v2, v10
	v_mul_lo_u32 v12, v2, v9
	v_mul_hi_u32 v13, v2, v9
	v_mul_hi_u32 v14, v6, v10
	v_mul_lo_u32 v10, v6, v10
	v_mul_hi_u32 v15, v6, v9
	v_mul_lo_u32 v9, v6, v9
	v_add_co_u32 v11, vcc_lo, v11, v12
	v_add_co_ci_u32_e32 v12, vcc_lo, 0, v13, vcc_lo
	v_add_co_u32 v10, vcc_lo, v11, v10
	v_add_co_ci_u32_e32 v10, vcc_lo, v12, v14, vcc_lo
	v_add_co_ci_u32_e32 v11, vcc_lo, 0, v15, vcc_lo
	v_add_co_u32 v9, vcc_lo, v10, v9
	v_add_co_ci_u32_e32 v10, vcc_lo, 0, v11, vcc_lo
	v_add_co_u32 v2, vcc_lo, v2, v9
	v_add_co_ci_u32_e32 v6, vcc_lo, v6, v10, vcc_lo
	v_mul_hi_u32 v9, s0, v2
	v_mul_lo_u32 v11, s22, v2
	v_mul_lo_u32 v10, s0, v6
	v_add_nc_u32_e32 v9, v9, v10
	v_mul_lo_u32 v10, s0, v2
	v_add_nc_u32_e32 v9, v9, v11
	v_mul_hi_u32 v11, v2, v10
	v_mul_lo_u32 v12, v2, v9
	v_mul_hi_u32 v13, v2, v9
	v_mul_hi_u32 v14, v6, v10
	v_mul_lo_u32 v10, v6, v10
	v_mul_hi_u32 v15, v6, v9
	v_mul_lo_u32 v9, v6, v9
	v_add_co_u32 v11, vcc_lo, v11, v12
	v_add_co_ci_u32_e32 v12, vcc_lo, 0, v13, vcc_lo
	v_add_co_u32 v10, vcc_lo, v11, v10
	v_add_co_ci_u32_e32 v10, vcc_lo, v12, v14, vcc_lo
	v_add_co_ci_u32_e32 v11, vcc_lo, 0, v15, vcc_lo
	v_add_co_u32 v9, vcc_lo, v10, v9
	v_add_co_ci_u32_e32 v10, vcc_lo, 0, v11, vcc_lo
	v_add_co_u32 v2, vcc_lo, v2, v9
	v_add_co_ci_u32_e32 v6, vcc_lo, v6, v10, vcc_lo
	v_mul_hi_u32 v15, v7, v2
	v_mad_u64_u32 v[11:12], null, v8, v2, 0
	v_mad_u64_u32 v[9:10], null, v7, v6, 0
	v_mad_u64_u32 v[13:14], null, v8, v6, 0
	v_add_co_u32 v2, vcc_lo, v15, v9
	v_add_co_ci_u32_e32 v6, vcc_lo, 0, v10, vcc_lo
	v_add_co_u32 v2, vcc_lo, v2, v11
	v_add_co_ci_u32_e32 v2, vcc_lo, v6, v12, vcc_lo
	v_add_co_ci_u32_e32 v6, vcc_lo, 0, v14, vcc_lo
	v_add_co_u32 v2, vcc_lo, v2, v13
	v_add_co_ci_u32_e32 v6, vcc_lo, 0, v6, vcc_lo
	v_mul_lo_u32 v11, s21, v2
	v_mad_u64_u32 v[9:10], null, s20, v2, 0
	v_mul_lo_u32 v12, s20, v6
	v_sub_co_u32 v9, vcc_lo, v7, v9
	v_add3_u32 v10, v10, v12, v11
	v_sub_nc_u32_e32 v11, v8, v10
	v_subrev_co_ci_u32_e64 v11, s0, s21, v11, vcc_lo
	v_add_co_u32 v12, s0, v2, 2
	v_add_co_ci_u32_e64 v13, s0, 0, v6, s0
	v_sub_co_u32 v14, s0, v9, s20
	v_sub_co_ci_u32_e32 v10, vcc_lo, v8, v10, vcc_lo
	v_subrev_co_ci_u32_e64 v11, s0, 0, v11, s0
	v_cmp_le_u32_e32 vcc_lo, s20, v14
	v_cmp_eq_u32_e64 s0, s21, v10
	v_cndmask_b32_e64 v14, 0, -1, vcc_lo
	v_cmp_le_u32_e32 vcc_lo, s21, v11
	v_cndmask_b32_e64 v15, 0, -1, vcc_lo
	v_cmp_le_u32_e32 vcc_lo, s20, v9
	;; [unrolled: 2-line block ×3, first 2 shown]
	v_cndmask_b32_e64 v16, 0, -1, vcc_lo
	v_cmp_eq_u32_e32 vcc_lo, s21, v11
	v_cndmask_b32_e64 v9, v16, v9, s0
	v_cndmask_b32_e32 v11, v15, v14, vcc_lo
	v_add_co_u32 v14, vcc_lo, v2, 1
	v_add_co_ci_u32_e32 v15, vcc_lo, 0, v6, vcc_lo
	v_cmp_ne_u32_e32 vcc_lo, 0, v11
	v_cndmask_b32_e32 v10, v15, v13, vcc_lo
	v_cndmask_b32_e32 v11, v14, v12, vcc_lo
	v_cmp_ne_u32_e32 vcc_lo, 0, v9
	v_cndmask_b32_e32 v10, v6, v10, vcc_lo
	v_cndmask_b32_e32 v9, v2, v11, vcc_lo
.LBB0_4:                                ;   in Loop: Header=BB0_2 Depth=1
	s_andn2_saveexec_b32 s0, s1
	s_cbranch_execz .LBB0_6
; %bb.5:                                ;   in Loop: Header=BB0_2 Depth=1
	v_cvt_f32_u32_e32 v2, s20
	s_sub_i32 s1, 0, s20
	v_rcp_iflag_f32_e32 v2, v2
	v_mul_f32_e32 v2, 0x4f7ffffe, v2
	v_cvt_u32_f32_e32 v2, v2
	v_mul_lo_u32 v6, s1, v2
	v_mul_hi_u32 v6, v2, v6
	v_add_nc_u32_e32 v2, v2, v6
	v_mul_hi_u32 v2, v7, v2
	v_mul_lo_u32 v6, v2, s20
	v_add_nc_u32_e32 v9, 1, v2
	v_sub_nc_u32_e32 v6, v7, v6
	v_subrev_nc_u32_e32 v10, s20, v6
	v_cmp_le_u32_e32 vcc_lo, s20, v6
	v_cndmask_b32_e32 v6, v6, v10, vcc_lo
	v_cndmask_b32_e32 v2, v2, v9, vcc_lo
	v_mov_b32_e32 v10, v5
	v_cmp_le_u32_e32 vcc_lo, s20, v6
	v_add_nc_u32_e32 v9, 1, v2
	v_cndmask_b32_e32 v9, v2, v9, vcc_lo
.LBB0_6:                                ;   in Loop: Header=BB0_2 Depth=1
	s_or_b32 exec_lo, exec_lo, s0
	s_load_dwordx2 s[0:1], s[6:7], 0x0
	v_mul_lo_u32 v2, v10, s20
	v_mul_lo_u32 v6, v9, s21
	v_mad_u64_u32 v[11:12], null, v9, s20, 0
	s_add_u32 s18, s18, 1
	s_addc_u32 s19, s19, 0
	s_add_u32 s6, s6, 8
	s_addc_u32 s7, s7, 0
	s_add_u32 s16, s16, 8
	s_addc_u32 s17, s17, 0
	v_add3_u32 v2, v12, v6, v2
	v_sub_co_u32 v6, vcc_lo, v7, v11
	v_sub_co_ci_u32_e32 v2, vcc_lo, v8, v2, vcc_lo
	s_waitcnt lgkmcnt(0)
	v_mul_lo_u32 v7, s1, v6
	v_mul_lo_u32 v2, s0, v2
	v_mad_u64_u32 v[3:4], null, s0, v6, v[3:4]
	v_cmp_ge_u64_e64 s0, s[18:19], s[10:11]
	s_and_b32 vcc_lo, exec_lo, s0
	v_add3_u32 v4, v7, v4, v2
	s_cbranch_vccnz .LBB0_8
; %bb.7:                                ;   in Loop: Header=BB0_2 Depth=1
	v_mov_b32_e32 v7, v9
	v_mov_b32_e32 v8, v10
	s_branch .LBB0_2
.LBB0_8:
	s_lshl_b64 s[0:1], s[10:11], 3
	v_mul_hi_u32 v5, 0x3030304, v0
	s_add_u32 s0, s14, s0
	s_addc_u32 s1, s15, s1
                                        ; implicit-def: $vgpr16_vgpr17
                                        ; implicit-def: $vgpr20_vgpr21
                                        ; implicit-def: $vgpr24_vgpr25
                                        ; implicit-def: $vgpr28_vgpr29
                                        ; implicit-def: $vgpr32_vgpr33
                                        ; implicit-def: $vgpr36_vgpr37
                                        ; implicit-def: $vgpr44_vgpr45
                                        ; implicit-def: $vgpr48_vgpr49
                                        ; implicit-def: $vgpr64_vgpr65
                                        ; implicit-def: $vgpr72_vgpr73
                                        ; implicit-def: $vgpr80_vgpr81
                                        ; implicit-def: $vgpr68_vgpr69
                                        ; implicit-def: $vgpr76_vgpr77
                                        ; implicit-def: $vgpr52_vgpr53
                                        ; implicit-def: $vgpr56_vgpr57
                                        ; implicit-def: $vgpr60_vgpr61
                                        ; implicit-def: $vgpr40_vgpr41
	s_load_dwordx2 s[0:1], s[0:1], 0x0
	s_load_dwordx2 s[4:5], s[4:5], 0x20
	s_waitcnt lgkmcnt(0)
	v_mul_lo_u32 v6, s0, v10
	v_mul_lo_u32 v7, s1, v9
	v_mad_u64_u32 v[2:3], null, s0, v9, v[3:4]
	v_mul_u32_u24_e32 v4, 0x55, v5
	v_cmp_gt_u64_e32 vcc_lo, s[4:5], v[9:10]
	v_sub_nc_u32_e32 v176, v0, v4
	v_add3_u32 v3, v7, v3, v6
	v_cmp_gt_u32_e64 s0, 55, v176
	v_lshlrev_b64 v[102:103], 4, v[2:3]
	s_and_b32 s1, vcc_lo, s0
	s_and_saveexec_b32 s4, s1
	s_cbranch_execz .LBB0_10
; %bb.9:
	v_add_nc_u32_e32 v12, 55, v176
	v_mad_u64_u32 v[2:3], null, s2, v176, 0
	v_add_nc_u32_e32 v13, 0x6e, v176
	v_add_nc_u32_e32 v14, 0xa5, v176
	v_mad_u64_u32 v[4:5], null, s2, v12, 0
	v_add_nc_u32_e32 v15, 0xdc, v176
	v_mad_u64_u32 v[6:7], null, s2, v13, 0
	v_mov_b32_e32 v0, v3
	v_mad_u64_u32 v[8:9], null, s2, v14, 0
	v_mov_b32_e32 v3, v5
	v_add_co_u32 v30, s1, s12, v102
	v_mad_u64_u32 v[10:11], null, s3, v176, v[0:1]
	v_mad_u64_u32 v[11:12], null, s3, v12, v[3:4]
	v_mov_b32_e32 v0, v7
	v_mov_b32_e32 v7, v9
	v_add_co_ci_u32_e64 v31, s1, s13, v103, s1
	v_mov_b32_e32 v3, v10
	v_mad_u64_u32 v[9:10], null, s3, v13, v[0:1]
	v_mov_b32_e32 v5, v11
	v_mad_u64_u32 v[10:11], null, s3, v14, v[7:8]
	v_mad_u64_u32 v[11:12], null, s2, v15, 0
	v_lshlrev_b64 v[2:3], 4, v[2:3]
	v_mov_b32_e32 v7, v9
	v_lshlrev_b64 v[4:5], 4, v[4:5]
	v_add_nc_u32_e32 v19, 0x14a, v176
	v_mov_b32_e32 v9, v10
	v_add_nc_u32_e32 v10, 0x113, v176
	v_mov_b32_e32 v0, v12
	v_add_co_u32 v2, s1, v30, v2
	v_lshlrev_b64 v[6:7], 4, v[6:7]
	v_add_co_ci_u32_e64 v3, s1, v31, v3, s1
	v_mad_u64_u32 v[12:13], null, s3, v15, v[0:1]
	v_mad_u64_u32 v[13:14], null, s2, v10, 0
	v_add_co_u32 v4, s1, v30, v4
	v_lshlrev_b64 v[8:9], 4, v[8:9]
	v_add_co_ci_u32_e64 v5, s1, v31, v5, s1
	v_mad_u64_u32 v[15:16], null, s2, v19, 0
	v_mov_b32_e32 v0, v14
	v_add_co_u32 v6, s1, v30, v6
	v_add_co_ci_u32_e64 v7, s1, v31, v7, s1
	v_mad_u64_u32 v[17:18], null, s3, v10, v[0:1]
	v_add_nc_u32_e32 v18, 0x181, v176
	v_add_co_u32 v8, s1, v30, v8
	v_add_co_ci_u32_e64 v9, s1, v31, v9, s1
	s_clause 0x3
	global_load_dwordx4 v[38:41], v[2:3], off
	global_load_dwordx4 v[58:61], v[4:5], off
	;; [unrolled: 1-line block ×4, first 2 shown]
	v_mov_b32_e32 v0, v16
	v_mad_u64_u32 v[4:5], null, s2, v18, 0
	v_lshlrev_b64 v[2:3], 4, v[11:12]
	v_add_nc_u32_e32 v12, 0x1b8, v176
	v_mov_b32_e32 v14, v17
	v_mad_u64_u32 v[6:7], null, s3, v19, v[0:1]
	v_add_nc_u32_e32 v20, 0x226, v176
	v_mad_u64_u32 v[9:10], null, s2, v12, 0
	v_lshlrev_b64 v[7:8], 4, v[13:14]
	v_mov_b32_e32 v0, v5
	v_add_co_u32 v2, s1, v30, v2
	v_add_co_ci_u32_e64 v3, s1, v31, v3, s1
	v_mov_b32_e32 v16, v6
	v_mad_u64_u32 v[5:6], null, s3, v18, v[0:1]
	v_add_co_u32 v6, s1, v30, v7
	v_mov_b32_e32 v0, v10
	v_add_co_ci_u32_e64 v7, s1, v31, v8, s1
	v_add_nc_u32_e32 v8, 0x1ef, v176
	v_lshlrev_b64 v[10:11], 4, v[15:16]
	v_mad_u64_u32 v[12:13], null, s3, v12, v[0:1]
	v_add_nc_u32_e32 v23, 0x25d, v176
	v_mad_u64_u32 v[13:14], null, s2, v8, 0
	v_add_co_u32 v15, s1, v30, v10
	v_add_co_ci_u32_e64 v16, s1, v31, v11, s1
	v_mov_b32_e32 v10, v12
	v_mad_u64_u32 v[11:12], null, s2, v20, 0
	v_mov_b32_e32 v0, v14
	v_add_nc_u32_e32 v25, 0x2cb, v176
	v_add_nc_u32_e32 v26, 0x302, v176
	v_lshlrev_b64 v[4:5], 4, v[4:5]
	v_add_nc_u32_e32 v32, 0x339, v176
	v_mad_u64_u32 v[17:18], null, s3, v8, v[0:1]
	v_mad_u64_u32 v[18:19], null, s2, v23, 0
	v_mov_b32_e32 v0, v12
	v_lshlrev_b64 v[8:9], 4, v[9:10]
	v_add_co_u32 v4, s1, v30, v4
	v_mov_b32_e32 v14, v17
	v_add_nc_u32_e32 v17, 0x294, v176
	v_mad_u64_u32 v[20:21], null, s3, v20, v[0:1]
	v_mov_b32_e32 v0, v19
	v_lshlrev_b64 v[13:14], 4, v[13:14]
	v_mad_u64_u32 v[21:22], null, s2, v17, 0
	v_add_co_ci_u32_e64 v5, s1, v31, v5, s1
	v_mad_u64_u32 v[23:24], null, s3, v23, v[0:1]
	v_mov_b32_e32 v12, v20
	v_add_co_u32 v8, s1, v30, v8
	v_mov_b32_e32 v0, v22
	v_add_co_ci_u32_e64 v9, s1, v31, v9, s1
	v_mov_b32_e32 v19, v23
	v_lshlrev_b64 v[10:11], 4, v[11:12]
	v_mad_u64_u32 v[22:23], null, s3, v17, v[0:1]
	v_mad_u64_u32 v[23:24], null, s2, v26, 0
	v_lshlrev_b64 v[17:18], 4, v[18:19]
	v_mad_u64_u32 v[19:20], null, s2, v25, 0
	v_add_co_u32 v13, s1, v30, v13
	v_add_co_ci_u32_e64 v14, s1, v31, v14, s1
	v_mov_b32_e32 v12, v24
	v_add_co_u32 v10, s1, v30, v10
	v_mov_b32_e32 v0, v20
	v_lshlrev_b64 v[20:21], 4, v[21:22]
	v_add_co_ci_u32_e64 v11, s1, v31, v11, s1
	v_add_co_u32 v17, s1, v30, v17
	v_mad_u64_u32 v[24:25], null, s3, v25, v[0:1]
	v_mad_u64_u32 v[25:26], null, s3, v26, v[12:13]
	;; [unrolled: 1-line block ×3, first 2 shown]
	v_add_nc_u32_e32 v12, 0x370, v176
	v_add_co_ci_u32_e64 v18, s1, v31, v18, s1
	v_add_co_u32 v28, s1, v30, v20
	v_add_co_ci_u32_e64 v29, s1, v31, v21, s1
	v_mad_u64_u32 v[21:22], null, s2, v12, 0
	v_mov_b32_e32 v0, v27
	s_clause 0x1
	global_load_dwordx4 v[74:77], v[2:3], off
	global_load_dwordx4 v[66:69], v[6:7], off
	v_mov_b32_e32 v20, v24
	v_mov_b32_e32 v24, v25
	s_clause 0x1
	global_load_dwordx4 v[78:81], v[15:16], off
	global_load_dwordx4 v[70:73], v[4:5], off
	v_mad_u64_u32 v[2:3], null, s3, v32, v[0:1]
	v_mov_b32_e32 v0, v22
	v_lshlrev_b64 v[3:4], 4, v[19:20]
	s_clause 0x1
	global_load_dwordx4 v[62:65], v[8:9], off
	global_load_dwordx4 v[46:49], v[13:14], off
	v_mad_u64_u32 v[5:6], null, s3, v12, v[0:1]
	v_lshlrev_b64 v[6:7], 4, v[23:24]
	v_mov_b32_e32 v27, v2
	v_add_co_u32 v2, s1, v30, v3
	v_add_co_ci_u32_e64 v3, s1, v31, v4, s1
	v_mov_b32_e32 v22, v5
	v_lshlrev_b64 v[15:16], 4, v[26:27]
	v_add_co_u32 v4, s1, v30, v6
	v_add_co_ci_u32_e64 v5, s1, v31, v7, s1
	v_lshlrev_b64 v[6:7], 4, v[21:22]
	v_add_co_u32 v15, s1, v30, v15
	v_add_co_ci_u32_e64 v16, s1, v31, v16, s1
	v_add_co_u32 v6, s1, v30, v6
	v_add_co_ci_u32_e64 v7, s1, v31, v7, s1
	s_clause 0x6
	global_load_dwordx4 v[42:45], v[10:11], off
	global_load_dwordx4 v[34:37], v[17:18], off
	;; [unrolled: 1-line block ×7, first 2 shown]
.LBB0_10:
	s_or_b32 exec_lo, exec_lo, s4
	s_waitcnt vmcnt(0)
	v_add_f64 v[8:9], v[14:15], v[58:59]
	s_mov_b32 s16, 0x3259b75e
	s_mov_b32 s20, 0xc61f0d01
	;; [unrolled: 1-line block ×8, first 2 shown]
	v_add_f64 v[12:13], v[60:61], -v[16:17]
	v_add_f64 v[10:11], v[18:19], v[54:55]
	s_mov_b32 s24, 0xeb564b22
	s_mov_b32 s18, 0x7faef3
	;; [unrolled: 1-line block ×11, first 2 shown]
	v_mul_f64 v[90:91], v[8:9], s[16:17]
	v_mul_f64 v[94:95], v[8:9], s[20:21]
	;; [unrolled: 1-line block ×4, first 2 shown]
	s_mov_b32 s27, 0xbfe9895b
	v_add_f64 v[142:143], v[56:57], -v[20:21]
	v_add_f64 v[112:113], v[22:23], v[50:51]
	s_mov_b32 s28, 0xacd6c6b4
	s_mov_b32 s52, 0x4363dd80
	;; [unrolled: 1-line block ×3, first 2 shown]
	v_mul_f64 v[126:127], v[10:11], s[18:19]
	v_mul_f64 v[128:129], v[10:11], s[10:11]
	;; [unrolled: 1-line block ×4, first 2 shown]
	s_mov_b32 s22, 0x370991
	s_mov_b32 s29, 0xbfc7851a
	;; [unrolled: 1-line block ×7, first 2 shown]
	v_add_f64 v[150:151], v[52:53], -v[24:25]
	v_fma_f64 v[2:3], v[12:13], s[24:25], v[90:91]
	v_fma_f64 v[4:5], v[12:13], s[54:55], v[94:95]
	;; [unrolled: 1-line block ×4, first 2 shown]
	v_add_f64 v[86:87], v[26:27], v[74:75]
	s_mov_b32 s30, 0x2a9d6da3
	v_mul_f64 v[130:131], v[112:113], s[20:21]
	v_mul_f64 v[134:135], v[112:113], s[14:15]
	;; [unrolled: 1-line block ×4, first 2 shown]
	v_fma_f64 v[84:85], v[142:143], s[28:29], v[126:127]
	v_fma_f64 v[92:93], v[142:143], s[52:53], v[128:129]
	;; [unrolled: 1-line block ×4, first 2 shown]
	s_mov_b32 s34, 0x5d8e7cdc
	s_mov_b32 s31, 0x3fe58eea
	;; [unrolled: 1-line block ×5, first 2 shown]
	v_add_f64 v[156:157], v[76:77], -v[28:29]
	v_add_f64 v[88:89], v[30:31], v[66:67]
	s_mov_b32 s51, 0x3fd71e95
	v_add_f64 v[2:3], v[38:39], v[2:3]
	v_add_f64 v[4:5], v[38:39], v[4:5]
	;; [unrolled: 1-line block ×4, first 2 shown]
	v_mul_f64 v[138:139], v[86:87], s[22:23]
	v_mul_f64 v[144:145], v[86:87], s[4:5]
	;; [unrolled: 1-line block ×4, first 2 shown]
	v_fma_f64 v[100:101], v[150:151], s[40:41], v[130:131]
	v_fma_f64 v[104:105], v[150:151], s[30:31], v[134:135]
	;; [unrolled: 1-line block ×4, first 2 shown]
	s_mov_b32 s37, 0xbfe0d888
	s_mov_b32 s50, s34
	;; [unrolled: 1-line block ×3, first 2 shown]
	v_add_f64 v[164:165], v[68:69], -v[32:33]
	s_mov_b32 s43, 0x3fefdd0d
	s_mov_b32 s42, s24
	v_add_f64 v[170:171], v[80:81], -v[36:37]
	s_mov_b32 s49, 0xbfe58eea
	v_mul_f64 v[154:155], v[88:89], s[4:5]
	v_mul_f64 v[158:159], v[88:89], s[18:19]
	v_add_f64 v[2:3], v[84:85], v[2:3]
	v_add_f64 v[4:5], v[92:93], v[4:5]
	;; [unrolled: 1-line block ×5, first 2 shown]
	v_mul_f64 v[122:123], v[88:89], s[14:15]
	v_mul_f64 v[168:169], v[88:89], s[16:17]
	v_fma_f64 v[96:97], v[156:157], s[50:51], v[138:139]
	v_fma_f64 v[98:99], v[156:157], s[38:39], v[144:145]
	;; [unrolled: 1-line block ×4, first 2 shown]
	v_add_f64 v[84:85], v[42:43], v[70:71]
	s_mov_b32 s48, s30
	v_add_f64 v[140:141], v[72:73], -v[44:45]
	s_mov_b32 s47, 0x3fe9895b
	s_mov_b32 s46, s26
	;; [unrolled: 1-line block ×4, first 2 shown]
	v_mul_hi_u32 v0, 0xaaaaaaab, v1
	v_add_f64 v[2:3], v[100:101], v[2:3]
	v_add_f64 v[4:5], v[104:105], v[4:5]
	;; [unrolled: 1-line block ×4, first 2 shown]
	v_mul_f64 v[162:163], v[92:93], s[10:11]
	v_mul_f64 v[166:167], v[92:93], s[16:17]
	;; [unrolled: 1-line block ×4, first 2 shown]
	v_fma_f64 v[104:105], v[164:165], s[38:39], v[154:155]
	v_fma_f64 v[106:107], v[164:165], s[28:29], v[158:159]
	;; [unrolled: 1-line block ×4, first 2 shown]
	v_mul_f64 v[100:101], v[84:85], s[6:7]
	v_mul_f64 v[108:109], v[84:85], s[22:23]
	;; [unrolled: 1-line block ×3, first 2 shown]
	v_lshrrev_b32_e32 v0, 1, v0
	v_lshl_add_u32 v0, v0, 1, v0
	v_add_f64 v[2:3], v[96:97], v[2:3]
	v_add_f64 v[4:5], v[98:99], v[4:5]
	;; [unrolled: 1-line block ×5, first 2 shown]
	v_mul_f64 v[110:111], v[84:85], s[16:17]
	v_fma_f64 v[179:180], v[170:171], s[36:37], v[162:163]
	v_fma_f64 v[181:182], v[170:171], s[42:43], v[166:167]
	;; [unrolled: 1-line block ×4, first 2 shown]
	v_sub_nc_u32_e32 v0, v1, v0
	v_fma_f64 v[187:188], v[140:141], s[34:35], v[108:109]
	v_fma_f64 v[191:192], v[140:141], s[28:29], v[174:175]
	v_mul_u32_u24_e32 v0, 0x3a7, v0
	v_add_f64 v[2:3], v[104:105], v[2:3]
	v_add_f64 v[4:5], v[106:107], v[4:5]
	;; [unrolled: 1-line block ×4, first 2 shown]
	v_add_f64 v[148:149], v[64:65], -v[48:49]
	v_mul_f64 v[96:97], v[82:83], s[14:15]
	v_mul_f64 v[98:99], v[82:83], s[6:7]
	;; [unrolled: 1-line block ×4, first 2 shown]
	v_fma_f64 v[177:178], v[140:141], s[46:47], v[100:101]
	v_fma_f64 v[189:190], v[140:141], s[24:25], v[110:111]
	v_add_f64 v[2:3], v[179:180], v[2:3]
	v_add_f64 v[4:5], v[181:182], v[4:5]
	;; [unrolled: 1-line block ×4, first 2 shown]
	v_fma_f64 v[179:180], v[148:149], s[30:31], v[96:97]
	v_fma_f64 v[181:182], v[148:149], s[26:27], v[98:99]
	;; [unrolled: 1-line block ×4, first 2 shown]
	v_add_f64 v[2:3], v[177:178], v[2:3]
	v_add_f64 v[4:5], v[187:188], v[4:5]
	;; [unrolled: 1-line block ×8, first 2 shown]
	v_lshlrev_b32_e32 v177, 3, v0
	s_and_saveexec_b32 s1, s0
	s_cbranch_execz .LBB0_12
; %bb.11:
	v_add_f64 v[0:1], v[58:59], v[38:39]
	v_mul_f64 v[202:203], v[12:13], s[54:55]
	v_mul_f64 v[224:225], v[12:13], s[38:39]
	;; [unrolled: 1-line block ×21, first 2 shown]
	v_add_f64 v[0:1], v[54:55], v[0:1]
	v_add_f64 v[94:95], v[94:95], -v[202:203]
	v_add_f64 v[118:119], v[118:119], -v[224:225]
	v_fma_f64 v[224:225], v[8:9], s[14:15], -v[230:231]
	v_add_f64 v[90:91], v[90:91], -v[218:219]
	v_add_f64 v[132:133], v[132:133], -v[190:191]
	v_fma_f64 v[202:203], v[8:9], s[18:19], v[208:209]
	v_add_f64 v[130:131], v[130:131], -v[210:211]
	v_fma_f64 v[208:209], v[8:9], s[18:19], -v[208:209]
	v_fma_f64 v[210:211], v[8:9], s[10:11], -v[220:221]
	v_add_f64 v[154:155], v[154:155], -v[206:207]
	v_add_f64 v[138:139], v[138:139], -v[212:213]
	v_fma_f64 v[206:207], v[10:11], s[22:23], v[214:215]
	v_fma_f64 v[212:213], v[10:11], s[22:23], -v[214:215]
	v_fma_f64 v[214:215], v[8:9], s[10:11], v[220:221]
	v_add_f64 v[126:127], v[126:127], -v[216:217]
	v_fma_f64 v[216:217], v[10:11], s[4:5], v[222:223]
	v_fma_f64 v[218:219], v[10:11], s[4:5], -v[222:223]
	v_fma_f64 v[222:223], v[8:9], s[14:15], v[230:231]
	v_add_f64 v[120:121], v[120:121], -v[228:229]
	v_fma_f64 v[228:229], v[8:9], s[22:23], v[12:13]
	v_fma_f64 v[8:9], v[8:9], s[22:23], -v[12:13]
	v_add_f64 v[0:1], v[50:51], v[0:1]
	v_mul_f64 v[198:199], v[150:151], s[30:31]
	v_mul_f64 v[240:241], v[150:151], s[56:57]
	;; [unrolled: 1-line block ×4, first 2 shown]
	v_add_f64 v[128:129], v[128:129], -v[200:201]
	v_fma_f64 v[230:231], v[10:11], s[16:17], -v[238:239]
	v_add_f64 v[94:95], v[38:39], v[94:95]
	v_add_f64 v[118:119], v[38:39], v[118:119]
	;; [unrolled: 1-line block ×4, first 2 shown]
	v_mul_f64 v[186:187], v[150:151], s[34:35]
	v_mul_f64 v[232:233], v[150:151], s[24:25]
	v_add_f64 v[136:137], v[136:137], -v[188:189]
	v_add_f64 v[12:13], v[38:39], v[202:203]
	v_add_f64 v[208:209], v[38:39], v[208:209]
	;; [unrolled: 1-line block ×5, first 2 shown]
	v_fma_f64 v[220:221], v[112:113], s[10:11], v[226:227]
	v_fma_f64 v[202:203], v[112:113], s[10:11], -v[226:227]
	v_fma_f64 v[226:227], v[10:11], s[16:17], v[238:239]
	v_add_f64 v[0:1], v[74:75], v[0:1]
	v_add_f64 v[222:223], v[38:39], v[222:223]
	v_mul_f64 v[150:151], v[150:151], s[38:39]
	v_fma_f64 v[238:239], v[10:11], s[14:15], v[142:143]
	v_fma_f64 v[10:11], v[10:11], s[14:15], -v[142:143]
	v_add_f64 v[8:9], v[38:39], v[8:9]
	v_add_f64 v[38:39], v[38:39], v[228:229]
	v_mul_f64 v[180:181], v[170:171], s[48:49]
	v_mul_f64 v[182:183], v[164:165], s[42:43]
	v_mul_f64 v[196:197], v[156:157], s[38:39]
	v_add_f64 v[174:175], v[174:175], -v[178:179]
	v_mul_f64 v[178:179], v[156:157], s[40:41]
	v_mul_f64 v[188:189], v[156:157], s[28:29]
	v_add_f64 v[134:135], v[134:135], -v[198:199]
	v_add_f64 v[146:147], v[146:147], -v[244:245]
	;; [unrolled: 1-line block ×3, first 2 shown]
	v_fma_f64 v[244:245], v[112:113], s[6:7], -v[248:249]
	v_add_f64 v[94:95], v[128:129], v[94:95]
	v_add_f64 v[118:119], v[120:121], v[118:119]
	;; [unrolled: 1-line block ×4, first 2 shown]
	v_mul_f64 v[184:185], v[156:157], s[36:37]
	v_add_f64 v[0:1], v[66:67], v[0:1]
	v_mul_f64 v[234:235], v[156:157], s[30:31]
	v_mul_f64 v[236:237], v[156:157], s[46:47]
	v_add_f64 v[152:153], v[152:153], -v[186:187]
	v_mul_f64 v[156:157], v[156:157], s[24:25]
	v_fma_f64 v[142:143], v[112:113], s[16:17], v[232:233]
	v_fma_f64 v[232:233], v[112:113], s[16:17], -v[232:233]
	v_add_f64 v[12:13], v[206:207], v[12:13]
	v_add_f64 v[208:209], v[212:213], v[208:209]
	;; [unrolled: 1-line block ×5, first 2 shown]
	v_fma_f64 v[240:241], v[112:113], s[6:7], v[248:249]
	v_add_f64 v[214:215], v[226:227], v[222:223]
	v_fma_f64 v[248:249], v[112:113], s[4:5], v[150:151]
	v_fma_f64 v[112:113], v[112:113], s[4:5], -v[150:151]
	v_add_f64 v[8:9], v[10:11], v[8:9]
	v_add_f64 v[10:11], v[238:239], v[38:39]
	v_mul_f64 v[194:195], v[164:165], s[28:29]
	v_mul_f64 v[242:243], v[164:165], s[30:31]
	v_add_f64 v[172:173], v[172:173], -v[180:181]
	v_mul_f64 v[180:181], v[170:171], s[28:29]
	v_add_f64 v[0:1], v[78:79], v[0:1]
	v_add_f64 v[168:169], v[168:169], -v[182:183]
	v_mul_f64 v[182:183], v[164:165], s[34:35]
	v_mul_f64 v[186:187], v[164:165], s[52:53]
	v_add_f64 v[144:145], v[144:145], -v[196:197]
	v_add_f64 v[114:115], v[114:115], -v[178:179]
	v_fma_f64 v[178:179], v[86:87], s[18:19], v[188:189]
	v_fma_f64 v[188:189], v[86:87], s[18:19], -v[188:189]
	v_add_f64 v[94:95], v[134:135], v[94:95]
	v_add_f64 v[118:119], v[124:125], v[118:119]
	v_add_f64 v[124:125], v[244:245], v[224:225]
	v_add_f64 v[90:91], v[130:131], v[90:91]
	v_mul_f64 v[250:251], v[164:165], s[26:27]
	v_add_f64 v[160:161], v[160:161], -v[184:185]
	v_fma_f64 v[120:121], v[86:87], s[14:15], v[234:235]
	v_fma_f64 v[228:229], v[86:87], s[14:15], -v[234:235]
	v_fma_f64 v[230:231], v[86:87], s[6:7], v[236:237]
	v_fma_f64 v[234:235], v[86:87], s[6:7], -v[236:237]
	;; [unrolled: 2-line block ×3, first 2 shown]
	v_add_f64 v[12:13], v[220:221], v[12:13]
	v_add_f64 v[156:157], v[202:203], v[208:209]
	v_add_f64 v[0:1], v[70:71], v[0:1]
	v_add_f64 v[202:203], v[232:233], v[210:211]
	v_add_f64 v[130:131], v[152:153], v[132:133]
	v_add_f64 v[132:133], v[142:143], v[136:137]
	v_add_f64 v[134:135], v[240:241], v[214:215]
	v_mul_f64 v[164:165], v[164:165], s[54:55]
	v_add_f64 v[8:9], v[112:113], v[8:9]
	v_add_f64 v[10:11], v[248:249], v[10:11]
	v_mul_f64 v[192:193], v[170:171], s[42:43]
	v_mul_f64 v[184:185], v[170:171], s[40:41]
	v_add_f64 v[158:159], v[158:159], -v[194:195]
	v_add_f64 v[38:39], v[122:123], -v[242:243]
	v_fma_f64 v[136:137], v[92:93], s[18:19], v[180:181]
	v_fma_f64 v[142:143], v[88:89], s[22:23], v[182:183]
	v_fma_f64 v[152:153], v[92:93], s[18:19], -v[180:181]
	v_fma_f64 v[180:181], v[88:89], s[22:23], -v[182:183]
	v_fma_f64 v[182:183], v[88:89], s[10:11], v[186:187]
	v_fma_f64 v[186:187], v[88:89], s[10:11], -v[186:187]
	v_add_f64 v[94:95], v[144:145], v[94:95]
	v_add_f64 v[114:115], v[114:115], v[118:119]
	;; [unrolled: 1-line block ×3, first 2 shown]
	v_mul_f64 v[204:205], v[170:171], s[36:37]
	v_add_f64 v[0:1], v[62:63], v[0:1]
	v_add_f64 v[90:91], v[138:139], v[90:91]
	v_fma_f64 v[112:113], v[88:89], s[6:7], -v[250:251]
	v_add_f64 v[12:13], v[120:121], v[12:13]
	v_add_f64 v[120:121], v[228:229], v[156:157]
	;; [unrolled: 1-line block ×4, first 2 shown]
	v_mul_f64 v[246:247], v[170:171], s[44:45]
	v_fma_f64 v[216:217], v[88:89], s[6:7], v[250:251]
	v_add_f64 v[130:131], v[230:231], v[132:133]
	v_add_f64 v[132:133], v[178:179], v[134:135]
	v_mul_f64 v[170:171], v[170:171], s[26:27]
	v_fma_f64 v[208:209], v[88:89], s[20:21], v[164:165]
	v_fma_f64 v[88:89], v[88:89], s[20:21], -v[164:165]
	v_add_f64 v[8:9], v[86:87], v[8:9]
	v_add_f64 v[10:11], v[226:227], v[10:11]
	v_mul_f64 v[190:191], v[140:141], s[24:25]
	v_add_f64 v[166:167], v[166:167], -v[192:193]
	v_mul_f64 v[194:195], v[140:141], s[34:35]
	v_mul_f64 v[150:151], v[140:141], s[30:31]
	;; [unrolled: 1-line block ×3, first 2 shown]
	v_fma_f64 v[134:135], v[92:93], s[20:21], -v[184:185]
	v_add_f64 v[0:1], v[46:47], v[0:1]
	v_add_f64 v[94:95], v[158:159], v[94:95]
	;; [unrolled: 1-line block ×4, first 2 shown]
	v_mul_f64 v[192:193], v[140:141], s[46:47]
	v_add_f64 v[162:163], v[162:163], -v[204:205]
	v_add_f64 v[90:91], v[154:155], v[90:91]
	v_add_f64 v[112:113], v[112:113], v[120:121]
	;; [unrolled: 1-line block ×4, first 2 shown]
	v_mul_f64 v[198:199], v[140:141], s[54:55]
	v_fma_f64 v[122:123], v[92:93], s[4:5], v[246:247]
	v_fma_f64 v[222:223], v[92:93], s[4:5], -v[246:247]
	v_add_f64 v[12:13], v[216:217], v[12:13]
	v_add_f64 v[124:125], v[142:143], v[130:131]
	v_fma_f64 v[86:87], v[92:93], s[20:21], v[184:185]
	v_add_f64 v[130:131], v[182:183], v[132:133]
	v_mul_f64 v[140:141], v[140:141], s[36:37]
	v_fma_f64 v[138:139], v[92:93], s[6:7], v[170:171]
	v_fma_f64 v[92:93], v[92:93], s[6:7], -v[170:171]
	v_add_f64 v[8:9], v[88:89], v[8:9]
	v_add_f64 v[10:11], v[208:209], v[10:11]
	;; [unrolled: 1-line block ×3, first 2 shown]
	v_mul_f64 v[200:201], v[148:149], s[36:37]
	v_mul_f64 v[212:213], v[148:149], s[26:27]
	;; [unrolled: 1-line block ×3, first 2 shown]
	v_fma_f64 v[88:89], v[84:85], s[14:15], v[150:151]
	v_fma_f64 v[132:133], v[84:85], s[14:15], -v[150:151]
	v_add_f64 v[108:109], v[108:109], -v[194:195]
	v_add_f64 v[110:111], v[110:111], -v[190:191]
	v_fma_f64 v[150:151], v[84:85], s[4:5], -v[218:219]
	v_add_f64 v[94:95], v[166:167], v[94:95]
	v_add_f64 v[38:39], v[146:147], v[38:39]
	;; [unrolled: 1-line block ×3, first 2 shown]
	v_mul_f64 v[206:207], v[148:149], s[30:31]
	v_add_f64 v[100:101], v[100:101], -v[192:193]
	v_add_f64 v[90:91], v[162:163], v[90:91]
	v_mul_f64 v[204:205], v[148:149], s[54:55]
	v_mul_f64 v[128:129], v[148:149], s[44:45]
	v_add_f64 v[120:121], v[152:153], v[120:121]
	v_add_f64 v[118:119], v[172:173], v[118:119]
	v_mul_f64 v[196:197], v[148:149], s[42:43]
	v_fma_f64 v[160:161], v[84:85], s[20:21], v[198:199]
	v_fma_f64 v[170:171], v[84:85], s[20:21], -v[198:199]
	v_add_f64 v[0:1], v[34:35], v[0:1]
	v_add_f64 v[12:13], v[122:123], v[12:13]
	;; [unrolled: 1-line block ×4, first 2 shown]
	v_fma_f64 v[142:143], v[84:85], s[4:5], v[218:219]
	v_add_f64 v[86:87], v[86:87], v[130:131]
	v_mul_f64 v[148:149], v[148:149], s[28:29]
	v_fma_f64 v[154:155], v[84:85], s[10:11], v[140:141]
	v_fma_f64 v[84:85], v[84:85], s[10:11], -v[140:141]
	v_add_f64 v[8:9], v[92:93], v[8:9]
	v_add_f64 v[10:11], v[138:139], v[10:11]
	v_add_f64 v[98:99], v[98:99], -v[212:213]
	v_add_f64 v[106:107], v[106:107], -v[200:201]
	v_fma_f64 v[124:125], v[82:83], s[22:23], v[126:127]
	v_fma_f64 v[126:127], v[82:83], s[22:23], -v[126:127]
	v_add_f64 v[94:95], v[108:109], v[94:95]
	v_add_f64 v[38:39], v[110:111], v[38:39]
	;; [unrolled: 1-line block ×3, first 2 shown]
	v_add_f64 v[96:97], v[96:97], -v[206:207]
	v_add_f64 v[90:91], v[100:101], v[90:91]
	v_fma_f64 v[92:93], v[82:83], s[20:21], -v[204:205]
	v_add_f64 v[116:117], v[116:117], -v[128:129]
	v_add_f64 v[0:1], v[30:31], v[0:1]
	v_add_f64 v[120:121], v[132:133], v[120:121]
	;; [unrolled: 1-line block ×3, first 2 shown]
	v_fma_f64 v[144:145], v[82:83], s[16:17], v[196:197]
	v_fma_f64 v[164:165], v[82:83], s[16:17], -v[196:197]
	v_add_f64 v[12:13], v[160:161], v[12:13]
	v_add_f64 v[112:113], v[170:171], v[112:113]
	v_fma_f64 v[178:179], v[82:83], s[20:21], v[204:205]
	v_add_f64 v[88:89], v[88:89], v[122:123]
	v_add_f64 v[86:87], v[142:143], v[86:87]
	v_fma_f64 v[128:129], v[82:83], s[18:19], v[148:149]
	v_fma_f64 v[82:83], v[82:83], s[18:19], -v[148:149]
	v_add_f64 v[8:9], v[84:85], v[8:9]
	v_add_f64 v[10:11], v[154:155], v[10:11]
	;; [unrolled: 1-line block ×15, first 2 shown]
	v_mul_u32_u24_e32 v82, 0x88, v176
	v_add3_u32 v82, 0, v82, v177
	v_add_f64 v[0:1], v[22:23], v[0:1]
	v_add_f64 v[0:1], v[18:19], v[0:1]
	;; [unrolled: 1-line block ×3, first 2 shown]
	ds_write2_b64 v82, v[4:5], v[6:7] offset0:12 offset1:13
	ds_write2_b64 v82, v[98:99], v[38:39] offset0:2 offset1:3
	;; [unrolled: 1-line block ×7, first 2 shown]
	ds_write2_b64 v82, v[0:1], v[8:9] offset1:1
	ds_write_b64 v82, v[10:11] offset:128
.LBB0_12:
	s_or_b32 exec_lo, exec_lo, s1
	v_add_f64 v[120:121], v[58:59], -v[14:15]
	v_add_f64 v[112:113], v[54:55], -v[18:19]
	v_add_f64 v[110:111], v[16:17], v[60:61]
	v_add_f64 v[124:125], v[50:51], -v[22:23]
	v_add_f64 v[106:107], v[20:21], v[56:57]
	v_add_f64 v[108:109], v[24:25], v[52:53]
	v_add_f64 v[126:127], v[74:75], -v[26:27]
	v_add_f64 v[116:117], v[28:29], v[76:77]
	v_add_f64 v[54:55], v[66:67], -v[30:31]
	v_add_f64 v[58:59], v[78:79], -v[34:35]
	;; [unrolled: 1-line block ×3, first 2 shown]
	v_lshlrev_b32_e32 v96, 3, v176
	s_waitcnt lgkmcnt(0)
	s_barrier
	buffer_gl0_inv
	v_add_nc_u32_e32 v178, 0, v96
	v_add3_u32 v171, 0, v177, v96
	v_add_nc_u32_e32 v170, v178, v177
	v_mul_f64 v[164:165], v[120:121], s[24:25]
	v_mul_f64 v[162:163], v[120:121], s[54:55]
	;; [unrolled: 1-line block ×22, first 2 shown]
	v_fma_f64 v[0:1], v[110:111], s[16:17], -v[164:165]
	v_fma_f64 v[8:9], v[110:111], s[20:21], -v[162:163]
	;; [unrolled: 1-line block ×13, first 2 shown]
	v_mul_f64 v[140:141], v[58:59], s[48:49]
	v_add_nc_u32_e32 v172, 0x800, v170
	v_fma_f64 v[82:83], v[116:117], s[10:11], -v[122:123]
	v_add_nc_u32_e32 v174, 0x400, v170
	v_add_nc_u32_e32 v173, 0x1000, v170
	;; [unrolled: 1-line block ×3, first 2 shown]
	v_add_f64 v[0:1], v[40:41], v[0:1]
	v_add_f64 v[8:9], v[40:41], v[8:9]
	;; [unrolled: 1-line block ×9, first 2 shown]
	v_fma_f64 v[22:23], v[116:117], s[22:23], -v[118:119]
	v_fma_f64 v[26:27], v[116:117], s[4:5], -v[132:133]
	v_add_f64 v[18:19], v[36:37], v[80:81]
	v_add_f64 v[0:1], v[30:31], v[0:1]
	;; [unrolled: 1-line block ×5, first 2 shown]
	v_add_f64 v[66:67], v[70:71], -v[42:43]
	v_mul_f64 v[70:71], v[58:59], s[42:43]
	v_fma_f64 v[30:31], v[8:9], s[4:5], -v[136:137]
	v_fma_f64 v[38:39], v[8:9], s[18:19], -v[78:79]
	;; [unrolled: 1-line block ×6, first 2 shown]
	v_add_f64 v[0:1], v[22:23], v[0:1]
	v_add_f64 v[14:15], v[26:27], v[14:15]
	;; [unrolled: 1-line block ×5, first 2 shown]
	v_mul_f64 v[148:149], v[66:67], s[24:25]
	v_mul_f64 v[150:151], v[66:67], s[46:47]
	;; [unrolled: 1-line block ×4, first 2 shown]
	v_fma_f64 v[82:83], v[18:19], s[10:11], -v[144:145]
	v_fma_f64 v[84:85], v[18:19], s[16:17], -v[70:71]
	v_add_f64 v[26:27], v[48:49], v[64:65]
	v_mul_f64 v[34:35], v[46:47], s[26:27]
	v_add_f64 v[0:1], v[30:31], v[0:1]
	v_add_f64 v[14:15], v[38:39], v[14:15]
	;; [unrolled: 1-line block ×4, first 2 shown]
	v_mul_f64 v[42:43], v[46:47], s[36:37]
	v_mul_f64 v[38:39], v[46:47], s[30:31]
	;; [unrolled: 1-line block ×3, first 2 shown]
	v_fma_f64 v[50:51], v[22:23], s[6:7], -v[150:151]
	v_fma_f64 v[90:91], v[22:23], s[22:23], -v[152:153]
	;; [unrolled: 1-line block ×4, first 2 shown]
	v_add_f64 v[0:1], v[82:83], v[0:1]
	v_add_f64 v[14:15], v[84:85], v[14:15]
	;; [unrolled: 1-line block ×4, first 2 shown]
	v_fma_f64 v[84:85], v[26:27], s[6:7], -v[34:35]
	v_fma_f64 v[82:83], v[26:27], s[14:15], -v[38:39]
	;; [unrolled: 1-line block ×4, first 2 shown]
	v_add_f64 v[50:51], v[50:51], v[0:1]
	v_add_f64 v[90:91], v[90:91], v[14:15]
	;; [unrolled: 1-line block ×4, first 2 shown]
	ds_read_b64 v[0:1], v171
	ds_read2_b64 v[98:101], v170 offset0:85 offset1:170
	ds_read2_b64 v[94:97], v174 offset0:127 offset1:212
	v_add_f64 v[14:15], v[82:83], v[50:51]
	v_add_f64 v[12:13], v[84:85], v[90:91]
	;; [unrolled: 1-line block ×4, first 2 shown]
	ds_read2_b64 v[90:93], v172 offset0:169 offset1:254
	ds_read2_b64 v[82:85], v173 offset0:83 offset1:168
	;; [unrolled: 1-line block ×3, first 2 shown]
	s_waitcnt lgkmcnt(0)
	s_barrier
	buffer_gl0_inv
	s_and_saveexec_b32 s33, s0
	s_cbranch_execz .LBB0_14
; %bb.13:
	v_add_f64 v[60:61], v[60:61], v[40:41]
	v_mul_f64 v[187:188], v[108:109], s[14:15]
	v_mul_f64 v[189:190], v[108:109], s[22:23]
	;; [unrolled: 1-line block ×7, first 2 shown]
	s_mov_b32 s42, 0x5d8e7cdc
	v_mul_f64 v[195:196], v[116:117], s[4:5]
	s_mov_b32 s43, 0xbfd71e95
	s_mov_b32 s29, 0xbfe58eea
	s_mov_b32 s28, 0x2a9d6da3
	s_mov_b32 s40, 0x4363dd80
	s_mov_b32 s41, 0xbfe0d888
	s_mov_b32 s36, 0xacd6c6b4
	v_mul_f64 v[185:186], v[108:109], s[20:21]
	v_mul_f64 v[199:200], v[18:19], s[10:11]
	;; [unrolled: 1-line block ×4, first 2 shown]
	s_mov_b32 s37, 0xbfc7851a
	s_mov_b32 s0, 0x370991
	v_add_f64 v[56:57], v[56:57], v[60:61]
	v_mul_f64 v[60:61], v[110:111], s[16:17]
	v_add_f64 v[130:131], v[187:188], v[130:131]
	v_add_f64 v[187:188], v[189:190], v[74:75]
	v_mul_f64 v[189:190], v[120:121], s[42:43]
	v_add_f64 v[114:115], v[191:192], v[114:115]
	v_mul_f64 v[191:192], v[120:121], s[28:29]
	v_add_f64 v[181:182], v[181:182], v[128:129]
	v_add_f64 v[128:129], v[183:184], v[158:159]
	v_mul_f64 v[183:184], v[22:23], s[22:23]
	v_add_f64 v[118:119], v[193:194], v[118:119]
	v_mul_f64 v[193:194], v[120:121], s[40:41]
	v_add_f64 v[154:155], v[179:180], v[154:155]
	v_mul_f64 v[179:180], v[18:19], s[14:15]
	v_mul_f64 v[158:159], v[22:23], s[6:7]
	v_mul_f64 v[205:206], v[120:121], s[36:37]
	s_mov_b32 s44, 0x6c9a05f6
	s_mov_b32 s1, 0x3fedd6d0
	;; [unrolled: 1-line block ×6, first 2 shown]
	v_add_f64 v[52:53], v[52:53], v[56:57]
	v_mul_f64 v[56:57], v[110:111], s[4:5]
	v_add_f64 v[164:165], v[60:61], v[164:165]
	v_mul_f64 v[60:61], v[8:9], s[18:19]
	s_mov_b32 s49, 0x3fe9895b
	v_add_f64 v[120:121], v[195:196], v[132:133]
	v_mul_f64 v[132:133], v[112:113], s[28:29]
	s_mov_b32 s48, s44
	s_mov_b32 s29, 0x3fe58eea
	s_mov_b32 s39, 0x3feca52d
	v_add_f64 v[142:143], v[185:186], v[142:143]
	v_mul_f64 v[185:186], v[22:23], s[18:19]
	s_mov_b32 s35, 0x3fd71e95
	v_mul_f64 v[195:196], v[112:113], s[30:31]
	s_mov_b32 s34, s42
	v_add_f64 v[70:71], v[201:202], v[70:71]
	v_mul_f64 v[201:202], v[126:127], s[28:29]
	v_mul_f64 v[207:208], v[124:125], s[30:31]
	s_mov_b32 s24, 0x2b2883cd
	s_mov_b32 s47, 0xbfeca52d
	;; [unrolled: 1-line block ×4, first 2 shown]
	v_add_f64 v[52:53], v[76:77], v[52:53]
	v_mul_f64 v[76:77], v[106:107], s[6:7]
	v_add_f64 v[168:169], v[56:57], v[168:169]
	v_mul_f64 v[56:57], v[8:9], s[4:5]
	v_add_f64 v[78:79], v[60:61], v[78:79]
	v_add_f64 v[60:61], v[183:184], v[152:153]
	v_fma_f64 v[183:184], v[110:111], s[18:19], -v[205:206]
	s_mov_b32 s26, 0x6ed5f1bb
	v_add_f64 v[164:165], v[40:41], v[164:165]
	s_mov_b32 s27, 0xbfe348c8
	v_add_f64 v[62:63], v[185:186], v[62:63]
	v_add_f64 v[52:53], v[68:69], v[52:53]
	v_mul_f64 v[68:69], v[110:111], s[20:21]
	s_mov_b32 s20, 0x75d4884
	s_mov_b32 s21, 0x3fe7a5f6
	v_add_f64 v[166:167], v[76:77], v[166:167]
	v_add_f64 v[76:77], v[56:57], v[136:137]
	v_mul_f64 v[136:137], v[124:125], s[44:45]
	v_add_f64 v[56:57], v[158:159], v[150:151]
	v_fma_f64 v[150:151], v[110:111], s[20:21], -v[191:192]
	v_add_f64 v[168:169], v[40:41], v[168:169]
	v_fma_f64 v[185:186], v[106:107], s[20:21], v[132:133]
	v_add_f64 v[183:184], v[40:41], v[183:184]
	v_add_f64 v[52:53], v[80:81], v[52:53]
	v_mul_f64 v[80:81], v[106:107], s[18:19]
	v_add_f64 v[162:163], v[68:69], v[162:163]
	v_mul_f64 v[68:69], v[8:9], s[16:17]
	v_add_f64 v[150:151], v[40:41], v[150:151]
	v_add_f64 v[52:53], v[72:73], v[52:53]
	v_mul_f64 v[72:73], v[110:111], s[6:7]
	v_add_f64 v[156:157], v[80:81], v[156:157]
	v_add_f64 v[80:81], v[68:69], v[134:135]
	;; [unrolled: 1-line block ×3, first 2 shown]
	v_mul_f64 v[144:145], v[126:127], s[36:37]
	v_mul_f64 v[199:200], v[126:127], s[48:49]
	;; [unrolled: 1-line block ×3, first 2 shown]
	v_add_f64 v[162:163], v[40:41], v[162:163]
	v_mul_f64 v[124:125], v[124:125], s[46:47]
	v_add_f64 v[197:198], v[64:65], v[52:53]
	v_mul_f64 v[52:53], v[116:117], s[10:11]
	v_mul_f64 v[64:65], v[8:9], s[14:15]
	v_add_f64 v[160:161], v[72:73], v[160:161]
	v_mul_f64 v[72:73], v[18:19], s[22:23]
	s_mov_b32 s22, 0x910ea3b9
	s_mov_b32 s23, 0xbfeb34fa
	v_add_f64 v[156:157], v[156:157], v[164:165]
	v_fma_f64 v[152:153], v[110:111], s[22:23], v[193:194]
	v_fma_f64 v[158:159], v[110:111], s[22:23], -v[193:194]
	v_add_f64 v[154:155], v[154:155], v[162:163]
	v_fma_f64 v[209:210], v[108:109], s[24:25], v[124:125]
	v_fma_f64 v[211:212], v[108:109], s[24:25], -v[124:125]
	v_mul_f64 v[164:165], v[26:27], s[10:11]
	s_mov_b32 s10, 0x923c349f
	v_mul_f64 v[162:163], v[26:27], s[14:15]
	s_mov_b32 s11, 0xbfeec746
	s_mov_b32 s15, 0x3fe0d888
	;; [unrolled: 1-line block ×3, first 2 shown]
	v_fma_f64 v[124:125], v[116:117], s[26:27], v[199:200]
	v_add_f64 v[193:194], v[48:49], v[197:198]
	v_add_f64 v[122:123], v[52:53], v[122:123]
	;; [unrolled: 1-line block ×5, first 2 shown]
	v_mul_f64 v[146:147], v[126:127], s[30:31]
	v_fma_f64 v[126:127], v[110:111], s[0:1], v[189:190]
	v_fma_f64 v[148:149], v[110:111], s[20:21], v[191:192]
	v_mul_f64 v[138:139], v[112:113], s[38:39]
	v_mul_f64 v[112:113], v[112:113], s[34:35]
	v_add_f64 v[72:73], v[179:180], v[140:141]
	v_fma_f64 v[140:141], v[110:111], s[0:1], -v[189:190]
	v_fma_f64 v[179:180], v[110:111], s[18:19], v[205:206]
	v_fma_f64 v[191:192], v[106:107], s[16:17], v[195:196]
	v_add_f64 v[160:161], v[40:41], v[160:161]
	v_add_f64 v[152:153], v[40:41], v[152:153]
	v_fma_f64 v[189:190], v[106:107], s[20:21], -v[132:133]
	v_fma_f64 v[110:111], v[108:109], s[26:27], v[136:137]
	v_fma_f64 v[48:49], v[108:109], s[26:27], -v[136:137]
	v_add_f64 v[158:159], v[40:41], v[158:159]
	v_fma_f64 v[136:137], v[108:109], s[16:17], v[207:208]
	v_fma_f64 v[132:133], v[108:109], s[16:17], -v[207:208]
	v_fma_f64 v[205:206], v[108:109], s[22:23], v[134:135]
	v_fma_f64 v[207:208], v[108:109], s[22:23], -v[134:135]
	v_add_f64 v[134:135], v[44:45], v[193:194]
	v_fma_f64 v[195:196], v[106:107], s[16:17], -v[195:196]
	v_add_f64 v[142:143], v[142:143], v[156:157]
	v_fma_f64 v[44:45], v[116:117], s[16:17], v[146:147]
	v_add_f64 v[203:204], v[40:41], v[126:127]
	v_add_f64 v[148:149], v[40:41], v[148:149]
	v_fma_f64 v[197:198], v[106:107], s[24:25], v[138:139]
	v_fma_f64 v[193:194], v[106:107], s[0:1], -v[112:113]
	v_fma_f64 v[138:139], v[106:107], s[24:25], -v[138:139]
	v_add_f64 v[140:141], v[40:41], v[140:141]
	v_add_f64 v[179:180], v[40:41], v[179:180]
	v_fma_f64 v[40:41], v[116:117], s[16:17], -v[146:147]
	v_fma_f64 v[146:147], v[106:107], s[0:1], v[112:113]
	v_fma_f64 v[112:113], v[116:117], s[18:19], v[144:145]
	v_fma_f64 v[106:107], v[116:117], s[18:19], -v[144:145]
	v_add_f64 v[144:145], v[166:167], v[168:169]
	v_add_f64 v[160:161], v[181:182], v[160:161]
	;; [unrolled: 1-line block ×3, first 2 shown]
	v_fma_f64 v[108:109], v[116:117], s[26:27], -v[199:200]
	v_fma_f64 v[126:127], v[116:117], s[20:21], v[201:202]
	v_fma_f64 v[116:117], v[116:117], s[20:21], -v[201:202]
	v_mul_f64 v[181:182], v[26:27], s[4:5]
	v_add_f64 v[36:37], v[36:37], v[134:135]
	v_add_f64 v[150:151], v[195:196], v[150:151]
	v_mul_f64 v[195:196], v[54:55], s[44:45]
	s_mov_b32 s4, 0xc61f0d01
	v_add_f64 v[168:169], v[185:186], v[203:204]
	v_add_f64 v[148:149], v[191:192], v[148:149]
	;; [unrolled: 1-line block ×6, first 2 shown]
	v_mul_f64 v[185:186], v[54:55], s[10:11]
	v_mul_f64 v[191:192], v[54:55], s[42:43]
	v_add_f64 v[146:147], v[146:147], v[179:180]
	v_mul_f64 v[54:55], v[54:55], s[14:15]
	v_mul_f64 v[166:167], v[26:27], s[6:7]
	v_add_f64 v[128:129], v[128:129], v[144:145]
	v_add_f64 v[160:161], v[187:188], v[160:161]
	s_mov_b32 s5, 0xbfd183b1
	s_mov_b32 s7, 0x3feec746
	;; [unrolled: 1-line block ×3, first 2 shown]
	v_mul_f64 v[158:159], v[58:59], s[44:45]
	v_mul_f64 v[179:180], v[58:59], s[36:37]
	;; [unrolled: 1-line block ×3, first 2 shown]
	v_add_f64 v[48:49], v[48:49], v[150:151]
	v_mul_f64 v[58:59], v[58:59], s[6:7]
	v_add_f64 v[42:43], v[164:165], v[42:43]
	v_add_f64 v[168:169], v[209:210], v[168:169]
	;; [unrolled: 1-line block ×7, first 2 shown]
	v_fma_f64 v[138:139], v[8:9], s[4:5], v[185:186]
	v_fma_f64 v[140:141], v[8:9], s[4:5], -v[185:186]
	v_add_f64 v[146:147], v[205:206], v[146:147]
	v_fma_f64 v[150:151], v[8:9], s[0:1], v[191:192]
	v_fma_f64 v[152:153], v[8:9], s[0:1], -v[191:192]
	v_fma_f64 v[164:165], v[8:9], s[26:27], v[195:196]
	v_fma_f64 v[183:184], v[8:9], s[26:27], -v[195:196]
	v_fma_f64 v[185:186], v[8:9], s[22:23], v[54:55]
	v_fma_f64 v[8:9], v[8:9], s[22:23], -v[54:55]
	v_add_f64 v[54:55], v[114:115], v[128:129]
	v_add_f64 v[114:115], v[118:119], v[142:143]
	;; [unrolled: 1-line block ×6, first 2 shown]
	v_fma_f64 v[106:107], v[18:19], s[26:27], -v[158:159]
	v_add_f64 v[44:45], v[44:45], v[168:169]
	v_add_f64 v[110:111], v[112:113], v[110:111]
	;; [unrolled: 1-line block ×6, first 2 shown]
	v_fma_f64 v[40:41], v[18:19], s[26:27], v[158:159]
	v_fma_f64 v[124:125], v[18:19], s[18:19], v[179:180]
	v_add_f64 v[122:123], v[126:127], v[146:147]
	v_fma_f64 v[126:127], v[18:19], s[18:19], -v[179:180]
	v_fma_f64 v[128:129], v[18:19], s[24:25], v[193:194]
	v_fma_f64 v[130:131], v[18:19], s[24:25], -v[193:194]
	v_fma_f64 v[132:133], v[18:19], s[4:5], v[58:59]
	v_fma_f64 v[18:19], v[18:19], s[4:5], -v[58:59]
	v_mul_f64 v[189:190], v[66:67], s[40:41]
	v_add_f64 v[54:55], v[74:75], v[54:55]
	v_add_f64 v[58:59], v[76:77], v[114:115]
	;; [unrolled: 1-line block ×3, first 2 shown]
	v_mul_f64 v[144:145], v[66:67], s[38:39]
	v_mul_f64 v[156:157], v[66:67], s[10:11]
	;; [unrolled: 1-line block ×3, first 2 shown]
	v_add_f64 v[76:77], v[80:81], v[120:121]
	v_add_f64 v[44:45], v[138:139], v[44:45]
	;; [unrolled: 1-line block ×10, first 2 shown]
	s_mov_b32 s31, 0x3fefdd0d
	v_mul_f64 v[154:155], v[46:47], s[36:37]
	v_mul_f64 v[187:188], v[46:47], s[10:11]
	;; [unrolled: 1-line block ×4, first 2 shown]
	v_fma_f64 v[36:37], v[22:23], s[22:23], v[189:190]
	v_add_f64 v[54:55], v[64:65], v[54:55]
	v_add_f64 v[58:59], v[68:69], v[58:59]
	v_add_f64 v[64:65], v[70:71], v[74:75]
	v_fma_f64 v[114:115], v[22:23], s[24:25], v[144:145]
	v_fma_f64 v[48:49], v[22:23], s[22:23], -v[189:190]
	v_fma_f64 v[116:117], v[22:23], s[24:25], -v[144:145]
	v_fma_f64 v[118:119], v[22:23], s[4:5], v[156:157]
	v_add_f64 v[40:41], v[40:41], v[44:45]
	v_add_f64 v[44:45], v[132:133], v[78:79]
	v_fma_f64 v[120:121], v[22:23], s[4:5], -v[156:157]
	v_fma_f64 v[122:123], v[22:23], s[20:21], v[66:67]
	v_fma_f64 v[22:23], v[22:23], s[20:21], -v[66:67]
	v_add_f64 v[66:67], v[72:73], v[76:77]
	v_add_f64 v[68:69], v[124:125], v[80:81]
	;; [unrolled: 1-line block ×11, first 2 shown]
	v_fma_f64 v[30:31], v[26:27], s[18:19], v[154:155]
	v_fma_f64 v[32:33], v[26:27], s[18:19], -v[154:155]
	v_fma_f64 v[76:77], v[26:27], s[4:5], v[187:188]
	v_fma_f64 v[78:79], v[26:27], s[4:5], -v[187:188]
	;; [unrolled: 2-line block ×4, first 2 shown]
	v_add_f64 v[46:47], v[52:53], v[54:55]
	v_add_f64 v[52:53], v[56:57], v[58:59]
	;; [unrolled: 1-line block ×26, first 2 shown]
	v_lshlrev_b32_e32 v20, 7, v176
	v_add3_u32 v20, v178, v20, v177
	ds_write2_b64 v20, v[12:13], v[14:15] offset0:12 offset1:13
	ds_write2_b64 v20, v[38:39], v[34:35] offset0:4 offset1:5
	;; [unrolled: 1-line block ×7, first 2 shown]
	ds_write2_b64 v20, v[16:17], v[30:31] offset1:1
	ds_write_b64 v20, v[18:19] offset:128
.LBB0_14:
	s_or_b32 exec_lo, exec_lo, s33
	v_and_b32_e32 v8, 0xff, v176
	v_mov_b32_e32 v9, 10
	s_waitcnt lgkmcnt(0)
	s_barrier
	buffer_gl0_inv
	v_mul_lo_u16 v8, 0xf1, v8
	s_mov_b32 s18, 0xf8bb580b
	s_mov_b32 s22, 0x8eee2c13
	;; [unrolled: 1-line block ×4, first 2 shown]
	v_lshrrev_b16 v16, 12, v8
	s_mov_b32 s23, 0xbfed1bb4
	s_mov_b32 s15, 0xbfefac9e
	s_mov_b32 s24, 0xbb3a28a1
	s_mov_b32 s26, 0xfd768dbf
	v_mul_lo_u16 v8, v16, 17
	s_mov_b32 s25, 0xbfe82f19
	s_mov_b32 s27, 0xbfd207e7
	;; [unrolled: 1-line block ×4, first 2 shown]
	v_sub_nc_u16 v17, v176, v8
	s_mov_b32 s10, 0x640f44db
	s_mov_b32 s5, 0x3feaeb8c
	;; [unrolled: 1-line block ×4, first 2 shown]
	v_mul_u32_u24_sdwa v8, v17, v9 dst_sel:DWORD dst_unused:UNUSED_PAD src0_sel:BYTE_0 src1_sel:DWORD
	s_mov_b32 s16, 0x7f775887
	s_mov_b32 s20, 0x9bcd5057
	;; [unrolled: 1-line block ×4, first 2 shown]
	v_lshlrev_b32_e32 v8, 4, v8
	s_mov_b32 s35, 0x3fe14ced
	s_mov_b32 s30, s26
	;; [unrolled: 1-line block ×4, first 2 shown]
	s_clause 0x9
	global_load_dwordx4 v[18:21], v8, s[8:9]
	global_load_dwordx4 v[22:25], v8, s[8:9] offset:16
	global_load_dwordx4 v[26:29], v8, s[8:9] offset:144
	;; [unrolled: 1-line block ×9, first 2 shown]
	ds_read2_b64 v[42:45], v170 offset0:85 offset1:170
	ds_read2_b64 v[70:73], v174 offset0:127 offset1:212
	;; [unrolled: 1-line block ×5, first 2 shown]
	s_mov_b32 s17, 0xbfe4f49e
	s_mov_b32 s21, 0xbfeeb42a
	;; [unrolled: 1-line block ×4, first 2 shown]
	v_and_b32_e32 v16, 0xffff, v16
	v_cmp_gt_u32_e64 s0, 17, v176
	v_mad_u32_u24 v16, 0x5d8, v16, 0
	s_waitcnt vmcnt(9) lgkmcnt(4)
	v_mul_f64 v[8:9], v[42:43], v[20:21]
	s_waitcnt vmcnt(8)
	v_mul_f64 v[62:63], v[44:45], v[24:25]
	v_mul_f64 v[24:25], v[100:101], v[24:25]
	s_waitcnt vmcnt(6) lgkmcnt(3)
	v_mul_f64 v[64:65], v[70:71], v[32:33]
	s_waitcnt vmcnt(5)
	v_mul_f64 v[68:69], v[86:87], v[40:41]
	v_mul_f64 v[74:75], v[94:95], v[32:33]
	s_waitcnt vmcnt(4)
	v_mul_f64 v[80:81], v[72:73], v[36:37]
	v_mul_f64 v[36:37], v[96:97], v[36:37]
	s_waitcnt vmcnt(2)
	v_mul_f64 v[118:119], v[84:85], v[54:55]
	s_waitcnt vmcnt(0)
	v_mul_f64 v[122:123], v[82:83], v[108:109]
	s_waitcnt lgkmcnt(0)
	v_mul_f64 v[124:125], v[56:57], v[40:41]
	v_mul_f64 v[126:127], v[116:117], v[54:55]
	;; [unrolled: 1-line block ×5, first 2 shown]
	v_fma_f64 v[60:61], v[98:99], v[18:19], -v[8:9]
	v_mul_f64 v[8:9], v[98:99], v[20:21]
	v_mul_f64 v[20:21], v[88:89], v[28:29]
	v_fma_f64 v[66:67], v[100:101], v[22:23], -v[62:63]
	v_mul_f64 v[28:29], v[58:59], v[28:29]
	v_fma_f64 v[54:55], v[44:45], v[22:23], v[24:25]
	v_mul_f64 v[98:99], v[110:111], v[48:49]
	v_mul_f64 v[48:49], v[90:91], v[48:49]
	v_add_f64 v[100:101], v[0:1], v[60:61]
	v_fma_f64 v[62:63], v[42:43], v[18:19], v[8:9]
	v_fma_f64 v[32:33], v[58:59], v[26:27], v[20:21]
	;; [unrolled: 1-line block ×3, first 2 shown]
	v_fma_f64 v[68:69], v[94:95], v[30:31], -v[64:65]
	v_fma_f64 v[56:57], v[70:71], v[30:31], v[74:75]
	v_fma_f64 v[74:75], v[88:89], v[26:27], -v[28:29]
	v_fma_f64 v[58:59], v[96:97], v[34:35], -v[80:81]
	v_fma_f64 v[42:43], v[72:73], v[34:35], v[36:37]
	v_fma_f64 v[34:35], v[116:117], v[52:53], v[118:119]
	v_fma_f64 v[72:73], v[86:87], v[38:39], -v[124:125]
	v_fma_f64 v[70:71], v[84:85], v[52:53], -v[126:127]
	;; [unrolled: 1-line block ×4, first 2 shown]
	v_fma_f64 v[40:41], v[110:111], v[46:47], v[48:49]
	v_fma_f64 v[46:47], v[92:93], v[76:77], -v[120:121]
	v_fma_f64 v[36:37], v[114:115], v[106:107], v[122:123]
	v_fma_f64 v[38:39], v[112:113], v[76:77], v[78:79]
	v_add_f64 v[18:19], v[100:101], v[66:67]
	v_add_f64 v[20:21], v[62:63], -v[32:33]
	v_add_f64 v[22:23], v[54:55], -v[8:9]
	v_add_f64 v[26:27], v[60:61], v[74:75]
	v_add_f64 v[24:25], v[56:57], -v[34:35]
	v_add_f64 v[30:31], v[66:67], v[72:73]
	v_add_f64 v[48:49], v[68:69], v[70:71]
	;; [unrolled: 1-line block ×4, first 2 shown]
	v_add_f64 v[28:29], v[42:43], -v[36:37]
	v_add_f64 v[78:79], v[40:41], -v[38:39]
	v_add_f64 v[18:19], v[18:19], v[68:69]
	v_mul_f64 v[80:81], v[20:21], s[18:19]
	v_mul_f64 v[82:83], v[20:21], s[22:23]
	;; [unrolled: 1-line block ×20, first 2 shown]
	v_add_f64 v[18:19], v[18:19], v[58:59]
	v_mul_f64 v[116:117], v[78:79], s[26:27]
	v_fma_f64 v[120:121], v[26:27], s[4:5], -v[80:81]
	v_fma_f64 v[122:123], v[26:27], s[6:7], -v[82:83]
	v_fma_f64 v[82:83], v[26:27], s[6:7], v[82:83]
	v_fma_f64 v[124:125], v[26:27], s[10:11], -v[84:85]
	v_fma_f64 v[126:127], v[26:27], s[16:17], -v[86:87]
	v_fma_f64 v[86:87], v[26:27], s[16:17], v[86:87]
	v_fma_f64 v[128:129], v[26:27], s[20:21], -v[20:21]
	v_fma_f64 v[20:21], v[26:27], s[20:21], v[20:21]
	v_fma_f64 v[84:85], v[26:27], s[10:11], v[84:85]
	;; [unrolled: 1-line block ×3, first 2 shown]
	v_fma_f64 v[130:131], v[30:31], s[6:7], -v[88:89]
	v_fma_f64 v[88:89], v[30:31], s[6:7], v[88:89]
	v_fma_f64 v[132:133], v[30:31], s[16:17], -v[90:91]
	v_fma_f64 v[90:91], v[30:31], s[16:17], v[90:91]
	;; [unrolled: 2-line block ×5, first 2 shown]
	v_add_f64 v[18:19], v[18:19], v[44:45]
	v_fma_f64 v[140:141], v[48:49], s[20:21], -v[98:99]
	v_add_f64 v[30:31], v[0:1], v[120:121]
	v_add_f64 v[120:121], v[0:1], v[122:123]
	;; [unrolled: 1-line block ×10, first 2 shown]
	v_fma_f64 v[128:129], v[48:49], s[10:11], -v[96:97]
	v_fma_f64 v[96:97], v[48:49], s[10:11], v[96:97]
	v_fma_f64 v[98:99], v[48:49], s[20:21], v[98:99]
	v_fma_f64 v[142:143], v[48:49], s[6:7], -v[100:101]
	v_fma_f64 v[100:101], v[48:49], s[6:7], v[100:101]
	v_fma_f64 v[144:145], v[48:49], s[4:5], -v[106:107]
	;; [unrolled: 2-line block ×3, first 2 shown]
	v_fma_f64 v[24:25], v[48:49], s[16:17], v[24:25]
	v_mul_f64 v[118:119], v[78:79], s[34:35]
	v_add_f64 v[18:19], v[18:19], v[46:47]
	v_mul_f64 v[80:81], v[78:79], s[24:25]
	v_add_f64 v[30:31], v[130:131], v[30:31]
	v_add_f64 v[48:49], v[132:133], v[120:121]
	;; [unrolled: 1-line block ×10, first 2 shown]
	v_mul_f64 v[26:27], v[78:79], s[28:29]
	v_mul_f64 v[78:79], v[78:79], s[14:15]
	v_fma_f64 v[84:85], v[52:53], s[16:17], -v[108:109]
	v_fma_f64 v[88:89], v[52:53], s[16:17], v[108:109]
	v_fma_f64 v[92:93], v[52:53], s[10:11], -v[110:111]
	v_fma_f64 v[108:109], v[52:53], s[10:11], v[110:111]
	;; [unrolled: 2-line block ×4, first 2 shown]
	v_add_f64 v[18:19], v[18:19], v[64:65]
	v_fma_f64 v[124:125], v[52:53], s[6:7], -v[28:29]
	v_fma_f64 v[28:29], v[52:53], s[6:7], v[28:29]
	v_add_f64 v[48:49], v[140:141], v[48:49]
	v_add_f64 v[52:53], v[98:99], v[82:83]
	;; [unrolled: 1-line block ×10, first 2 shown]
	v_fma_f64 v[24:25], v[76:77], s[20:21], -v[116:117]
	v_fma_f64 v[96:97], v[76:77], s[20:21], v[116:117]
	v_fma_f64 v[98:99], v[76:77], s[4:5], -v[118:119]
	v_fma_f64 v[100:101], v[76:77], s[4:5], v[118:119]
	;; [unrolled: 2-line block ×4, first 2 shown]
	v_fma_f64 v[118:119], v[76:77], s[10:11], -v[78:79]
	v_add_f64 v[18:19], v[18:19], v[70:71]
	v_fma_f64 v[76:77], v[76:77], s[10:11], v[78:79]
	v_add_f64 v[48:49], v[92:93], v[48:49]
	v_add_f64 v[52:53], v[108:109], v[52:53]
	;; [unrolled: 1-line block ×21, first 2 shown]
	v_mov_b32_e32 v76, 3
	v_add_nc_u32_e32 v79, 0xc00, v170
	v_lshlrev_b32_sdwa v17, v76, v17 dst_sel:DWORD dst_unused:UNUSED_PAD src0_sel:DWORD src1_sel:BYTE_0
	ds_read_b64 v[76:77], v171
	s_waitcnt lgkmcnt(0)
	v_add_f64 v[18:19], v[18:19], v[74:75]
	s_barrier
	v_add3_u32 v78, v16, v17, v177
	buffer_gl0_inv
	ds_write2_b64 v78, v[28:29], v[48:49] offset0:34 offset1:51
	ds_write2_b64 v78, v[52:53], v[82:83] offset0:68 offset1:85
	;; [unrolled: 1-line block ×4, first 2 shown]
	ds_write_b64 v78, v[0:1] offset:1360
	ds_write2_b64 v78, v[18:19], v[24:25] offset1:17
	s_waitcnt lgkmcnt(0)
	s_barrier
	buffer_gl0_inv
	ds_read2_b64 v[16:19], v170 offset0:85 offset1:187
	ds_read2_b64 v[20:23], v172 offset0:16 offset1:118
	;; [unrolled: 1-line block ×4, first 2 shown]
	ds_read_b64 v[48:49], v171
	ds_read_b64 v[52:53], v170 offset:6664
	s_and_saveexec_b32 s1, s0
	s_cbranch_execz .LBB0_16
; %bb.15:
	v_add_nc_u32_e32 v0, 0x400, v170
	v_add_nc_u32_e32 v4, 0x1000, v170
	ds_read2_b64 v[0:3], v0 offset0:42 offset1:229
	ds_read2_b64 v[4:7], v4 offset0:32 offset1:219
	ds_read_b64 v[104:105], v170 offset:7344
.LBB0_16:
	s_or_b32 exec_lo, exec_lo, s1
	v_add_f64 v[80:81], v[76:77], v[62:63]
	v_add_f64 v[60:61], v[60:61], -v[74:75]
	v_add_f64 v[68:69], v[68:69], -v[70:71]
	;; [unrolled: 1-line block ×3, first 2 shown]
	v_add_f64 v[62:63], v[62:63], v[32:33]
	v_add_f64 v[44:45], v[44:45], -v[46:47]
	v_add_f64 v[58:59], v[58:59], -v[64:65]
	v_add_f64 v[64:65], v[42:43], v[36:37]
	v_add_f64 v[72:73], v[40:41], v[38:39]
	s_waitcnt lgkmcnt(0)
	s_barrier
	buffer_gl0_inv
	v_add_f64 v[80:81], v[80:81], v[54:55]
	v_mul_f64 v[46:47], v[60:61], s[18:19]
	v_mul_f64 v[74:75], v[60:61], s[22:23]
	;; [unrolled: 1-line block ×3, first 2 shown]
	v_add_f64 v[54:55], v[54:55], v[8:9]
	v_mul_f64 v[84:85], v[66:67], s[22:23]
	v_mul_f64 v[86:87], v[66:67], s[24:25]
	;; [unrolled: 1-line block ×15, first 2 shown]
	v_add_f64 v[70:71], v[80:81], v[56:57]
	v_mul_f64 v[80:81], v[60:61], s[14:15]
	v_mul_f64 v[60:61], v[60:61], s[26:27]
	v_fma_f64 v[114:115], v[62:63], s[4:5], v[46:47]
	v_fma_f64 v[116:117], v[62:63], s[6:7], v[74:75]
	v_fma_f64 v[74:75], v[62:63], s[6:7], -v[74:75]
	v_fma_f64 v[120:121], v[62:63], s[16:17], v[82:83]
	v_fma_f64 v[82:83], v[62:63], s[16:17], -v[82:83]
	v_fma_f64 v[46:47], v[62:63], s[4:5], -v[46:47]
	v_add_f64 v[56:57], v[56:57], v[34:35]
	v_fma_f64 v[124:125], v[54:55], s[16:17], v[86:87]
	v_fma_f64 v[86:87], v[54:55], s[16:17], -v[86:87]
	v_fma_f64 v[126:127], v[54:55], s[20:21], v[88:89]
	v_fma_f64 v[88:89], v[54:55], s[20:21], -v[88:89]
	;; [unrolled: 2-line block ×3, first 2 shown]
	v_fma_f64 v[130:131], v[54:55], s[4:5], v[66:67]
	v_add_f64 v[42:43], v[70:71], v[42:43]
	v_fma_f64 v[118:119], v[62:63], s[10:11], v[80:81]
	v_fma_f64 v[122:123], v[62:63], s[20:21], v[60:61]
	v_fma_f64 v[60:61], v[62:63], s[20:21], -v[60:61]
	v_fma_f64 v[80:81], v[62:63], s[10:11], -v[80:81]
	v_mul_f64 v[70:71], v[68:69], s[30:31]
	v_mul_f64 v[68:69], v[68:69], s[24:25]
	v_fma_f64 v[62:63], v[54:55], s[6:7], v[84:85]
	v_fma_f64 v[84:85], v[54:55], s[6:7], -v[84:85]
	v_fma_f64 v[54:55], v[54:55], s[4:5], -v[66:67]
	v_add_f64 v[66:67], v[76:77], v[114:115]
	v_add_f64 v[114:115], v[76:77], v[116:117]
	;; [unrolled: 1-line block ×5, first 2 shown]
	v_fma_f64 v[132:133], v[56:57], s[6:7], v[94:95]
	v_fma_f64 v[94:95], v[56:57], s[6:7], -v[94:95]
	v_fma_f64 v[134:135], v[56:57], s[4:5], v[96:97]
	v_fma_f64 v[96:97], v[56:57], s[4:5], -v[96:97]
	v_add_f64 v[40:41], v[42:43], v[40:41]
	v_add_f64 v[116:117], v[76:77], v[118:119]
	;; [unrolled: 1-line block ×6, first 2 shown]
	v_fma_f64 v[76:77], v[56:57], s[10:11], v[92:93]
	v_fma_f64 v[92:93], v[56:57], s[10:11], -v[92:93]
	v_fma_f64 v[122:123], v[56:57], s[20:21], v[70:71]
	v_fma_f64 v[70:71], v[56:57], s[20:21], -v[70:71]
	;; [unrolled: 2-line block ×3, first 2 shown]
	v_add_f64 v[62:63], v[62:63], v[66:67]
	v_add_f64 v[66:67], v[124:125], v[114:115]
	;; [unrolled: 1-line block ×5, first 2 shown]
	v_mul_f64 v[42:43], v[44:45], s[24:25]
	v_fma_f64 v[84:85], v[64:65], s[10:11], v[100:101]
	v_fma_f64 v[114:115], v[64:65], s[6:7], v[58:59]
	v_fma_f64 v[58:59], v[64:65], s[6:7], -v[58:59]
	v_add_f64 v[38:39], v[40:41], v[38:39]
	v_add_f64 v[74:75], v[126:127], v[116:117]
	;; [unrolled: 1-line block ×6, first 2 shown]
	v_mul_f64 v[40:41], v[44:45], s[28:29]
	v_fma_f64 v[80:81], v[64:65], s[16:17], -v[98:99]
	v_fma_f64 v[88:89], v[64:65], s[10:11], -v[100:101]
	;; [unrolled: 1-line block ×3, first 2 shown]
	v_add_f64 v[62:63], v[76:77], v[62:63]
	v_add_f64 v[46:47], v[92:93], v[46:47]
	;; [unrolled: 1-line block ×3, first 2 shown]
	v_mul_f64 v[38:39], v[44:45], s[14:15]
	v_fma_f64 v[44:45], v[64:65], s[16:17], v[98:99]
	v_fma_f64 v[98:99], v[64:65], s[4:5], v[106:107]
	;; [unrolled: 1-line block ×3, first 2 shown]
	v_fma_f64 v[108:109], v[64:65], s[20:21], -v[108:109]
	v_add_f64 v[64:65], v[122:123], v[66:67]
	v_add_f64 v[66:67], v[70:71], v[68:69]
	;; [unrolled: 1-line block ×8, first 2 shown]
	v_fma_f64 v[82:83], v[72:73], s[4:5], v[112:113]
	v_fma_f64 v[90:91], v[72:73], s[16:17], v[42:43]
	v_fma_f64 v[60:61], v[72:73], s[20:21], -v[110:111]
	v_fma_f64 v[86:87], v[72:73], s[4:5], -v[112:113]
	;; [unrolled: 1-line block ×3, first 2 shown]
	v_fma_f64 v[92:93], v[72:73], s[6:7], v[40:41]
	v_fma_f64 v[40:41], v[72:73], s[6:7], -v[40:41]
	v_add_f64 v[46:47], v[80:81], v[46:47]
	v_add_f64 v[34:35], v[36:37], v[34:35]
	v_fma_f64 v[36:37], v[72:73], s[20:21], v[110:111]
	v_add_f64 v[44:45], v[44:45], v[62:63]
	v_fma_f64 v[94:95], v[72:73], s[10:11], v[38:39]
	v_fma_f64 v[38:39], v[72:73], s[10:11], -v[38:39]
	v_add_f64 v[62:63], v[84:85], v[64:65]
	v_add_f64 v[64:65], v[88:89], v[66:67]
	;; [unrolled: 1-line block ×11, first 2 shown]
	v_add_nc_u32_e32 v46, 0x800, v170
	v_add_f64 v[44:45], v[82:83], v[62:63]
	v_add_f64 v[58:59], v[86:87], v[64:65]
	;; [unrolled: 1-line block ×8, first 2 shown]
	v_add_nc_u32_e32 v54, 0x1000, v170
	v_add_f64 v[32:33], v[34:35], v[32:33]
	ds_write2_b64 v78, v[44:45], v[62:63] offset0:34 offset1:51
	ds_write2_b64 v78, v[64:65], v[66:67] offset0:68 offset1:85
	;; [unrolled: 1-line block ×4, first 2 shown]
	ds_write_b64 v78, v[8:9] offset:1360
	ds_write2_b64 v78, v[32:33], v[36:37] offset1:17
	s_waitcnt lgkmcnt(0)
	s_barrier
	buffer_gl0_inv
	ds_read2_b64 v[32:35], v170 offset0:85 offset1:187
	ds_read2_b64 v[44:47], v46 offset0:16 offset1:118
	;; [unrolled: 1-line block ×4, first 2 shown]
	ds_read_b64 v[56:57], v171
	ds_read_b64 v[58:59], v170 offset:6664
	s_and_saveexec_b32 s1, s0
	s_cbranch_execz .LBB0_18
; %bb.17:
	v_add_nc_u32_e32 v8, 0x400, v170
	ds_read2_b64 v[12:15], v54 offset0:32 offset1:219
	ds_read2_b64 v[8:11], v8 offset0:42 offset1:229
	ds_read_b64 v[50:51], v170 offset:7344
.LBB0_18:
	s_or_b32 exec_lo, exec_lo, s1
	s_and_saveexec_b32 s1, vcc_lo
	s_cbranch_execz .LBB0_21
; %bb.19:
	v_add_nc_u32_e32 v111, 0x55, v176
	v_mov_b32_e32 v55, 0
	v_mad_u64_u32 v[94:95], null, s2, v176, 0
	v_add_nc_u32_e32 v108, 0xbb, v176
	v_lshlrev_b32_e32 v54, 2, v111
	v_add_nc_u32_e32 v110, 0x231, v176
	v_add_nc_u32_e32 v109, 0x176, v176
	;; [unrolled: 1-line block ×3, first 2 shown]
	v_mad_u64_u32 v[96:97], null, s2, v108, 0
	v_lshlrev_b64 v[60:61], 4, v[54:55]
	v_lshlrev_b32_e32 v54, 2, v176
	v_mad_u64_u32 v[100:101], null, s2, v110, 0
	v_mul_hi_u32 v113, 0xaf3addc7, v111
	v_mad_u64_u32 v[98:99], null, s2, v109, 0
	v_add_co_u32 v62, vcc_lo, s8, v60
	v_add_co_ci_u32_e32 v63, vcc_lo, s9, v61, vcc_lo
	v_lshlrev_b64 v[60:61], 4, v[54:55]
	v_add_co_u32 v74, vcc_lo, 0xaa0, v62
	v_add_co_ci_u32_e32 v75, vcc_lo, 0, v63, vcc_lo
	v_add_co_u32 v70, vcc_lo, 0x800, v62
	v_add_co_ci_u32_e32 v71, vcc_lo, 0, v63, vcc_lo
	;; [unrolled: 2-line block ×3, first 2 shown]
	s_clause 0x3
	global_load_dwordx4 v[62:65], v[74:75], off offset:32
	global_load_dwordx4 v[66:69], v[74:75], off offset:16
	;; [unrolled: 1-line block ×4, first 2 shown]
	v_add_co_u32 v60, vcc_lo, 0xaa0, v54
	v_add_co_ci_u32_e32 v61, vcc_lo, 0, v78, vcc_lo
	v_add_co_u32 v82, vcc_lo, 0x800, v54
	v_add_co_ci_u32_e32 v83, vcc_lo, 0, v78, vcc_lo
	s_clause 0x3
	global_load_dwordx4 v[78:81], v[60:61], off offset:16
	global_load_dwordx4 v[82:85], v[82:83], off offset:672
	;; [unrolled: 1-line block ×4, first 2 shown]
	v_add_co_u32 v60, vcc_lo, s12, v102
	v_mov_b32_e32 v54, v95
	v_add_co_ci_u32_e32 v61, vcc_lo, s13, v103, vcc_lo
	v_mad_u64_u32 v[102:103], null, s2, v112, 0
	v_mad_u64_u32 v[106:107], null, s3, v176, v[54:55]
	v_mov_b32_e32 v54, v97
	v_mov_b32_e32 v97, v101
	v_lshrrev_b32_e32 v101, 7, v113
	v_mov_b32_e32 v95, v99
	v_mov_b32_e32 v99, v103
	v_mad_u64_u32 v[107:108], null, s3, v108, v[54:55]
	v_mad_u32_u24 v117, 0x2ec, v101, v111
	v_mad_u64_u32 v[108:109], null, s3, v109, v[95:96]
	v_mad_u64_u32 v[109:110], null, s3, v110, v[97:98]
	;; [unrolled: 1-line block ×4, first 2 shown]
	v_add_nc_u32_e32 v119, 0xbb, v117
	v_add_nc_u32_e32 v120, 0x176, v117
	;; [unrolled: 1-line block ×4, first 2 shown]
	v_mov_b32_e32 v95, v106
	v_mov_b32_e32 v97, v107
	v_mad_u64_u32 v[106:107], null, s2, v119, 0
	v_mov_b32_e32 v99, v108
	v_mov_b32_e32 v101, v109
	v_mad_u64_u32 v[108:109], null, s2, v120, 0
	v_mad_u64_u32 v[113:114], null, s2, v121, 0
	;; [unrolled: 1-line block ×3, first 2 shown]
	v_mov_b32_e32 v54, v112
	v_mov_b32_e32 v103, v110
	v_lshlrev_b64 v[94:95], 4, v[94:95]
	v_lshlrev_b64 v[96:97], 4, v[96:97]
	;; [unrolled: 1-line block ×3, first 2 shown]
	v_mad_u64_u32 v[117:118], null, s3, v117, v[54:55]
	v_mov_b32_e32 v54, v107
	v_mov_b32_e32 v107, v109
	;; [unrolled: 1-line block ×4, first 2 shown]
	v_add_co_u32 v94, vcc_lo, v60, v94
	v_mad_u64_u32 v[118:119], null, s3, v119, v[54:55]
	v_mad_u64_u32 v[119:120], null, s3, v120, v[107:108]
	v_mad_u64_u32 v[120:121], null, s3, v121, v[109:110]
	v_mad_u64_u32 v[129:130], null, s3, v129, v[110:111]
	v_mov_b32_e32 v112, v117
	v_mov_b32_e32 v107, v118
	;; [unrolled: 1-line block ×3, first 2 shown]
	v_add_co_ci_u32_e32 v95, vcc_lo, v61, v95, vcc_lo
	v_mov_b32_e32 v114, v120
	v_mov_b32_e32 v116, v129
	v_lshlrev_b64 v[100:101], 4, v[100:101]
	v_add_co_u32 v96, vcc_lo, v60, v96
	v_add_co_ci_u32_e32 v97, vcc_lo, v61, v97, vcc_lo
	v_lshlrev_b64 v[102:103], 4, v[102:103]
	v_add_co_u32 v98, vcc_lo, v60, v98
	v_add_co_ci_u32_e32 v99, vcc_lo, v61, v99, vcc_lo
	v_add_co_u32 v100, vcc_lo, v60, v100
	v_add_co_ci_u32_e32 v101, vcc_lo, v61, v101, vcc_lo
	;; [unrolled: 2-line block ×3, first 2 shown]
	s_mov_b32 s14, 0x134454ff
	s_mov_b32 s15, 0xbfee6f0e
	;; [unrolled: 1-line block ×10, first 2 shown]
	s_waitcnt vmcnt(7)
	v_mul_f64 v[125:126], v[28:29], v[64:65]
	s_waitcnt vmcnt(6)
	v_mul_f64 v[121:122], v[24:25], v[68:69]
	;; [unrolled: 2-line block ×4, first 2 shown]
	s_waitcnt lgkmcnt(4)
	v_mul_f64 v[72:73], v[44:45], v[72:73]
	s_waitcnt lgkmcnt(0)
	v_mul_f64 v[76:77], v[58:59], v[76:77]
	v_mul_f64 v[68:69], v[36:37], v[68:69]
	;; [unrolled: 1-line block ×3, first 2 shown]
	s_waitcnt vmcnt(3)
	v_mul_f64 v[117:118], v[22:23], v[80:81]
	s_waitcnt vmcnt(2)
	v_mul_f64 v[119:120], v[18:19], v[84:85]
	;; [unrolled: 2-line block ×4, first 2 shown]
	v_mul_f64 v[80:81], v[46:47], v[80:81]
	v_mul_f64 v[88:89], v[38:39], v[88:89]
	v_mul_f64 v[84:85], v[34:35], v[84:85]
	v_mul_f64 v[92:93], v[42:43], v[92:93]
	v_fma_f64 v[40:41], v[40:41], v[62:63], v[125:126]
	v_fma_f64 v[36:37], v[36:37], v[66:67], v[121:122]
	;; [unrolled: 1-line block ×4, first 2 shown]
	v_fma_f64 v[20:21], v[20:21], v[70:71], -v[72:73]
	v_fma_f64 v[52:53], v[52:53], v[74:75], -v[76:77]
	;; [unrolled: 1-line block ×4, first 2 shown]
	v_lshlrev_b64 v[62:63], 4, v[111:112]
	v_lshlrev_b64 v[66:67], 4, v[108:109]
	;; [unrolled: 1-line block ×3, first 2 shown]
	v_fma_f64 v[46:47], v[46:47], v[78:79], v[117:118]
	v_fma_f64 v[34:35], v[34:35], v[82:83], v[119:120]
	;; [unrolled: 1-line block ×4, first 2 shown]
	v_fma_f64 v[22:23], v[22:23], v[78:79], -v[80:81]
	v_fma_f64 v[26:27], v[26:27], v[86:87], -v[88:89]
	;; [unrolled: 1-line block ×4, first 2 shown]
	v_lshlrev_b64 v[70:71], 4, v[115:116]
	v_add_co_u32 v72, vcc_lo, v60, v62
	v_add_co_ci_u32_e32 v73, vcc_lo, v61, v63, vcc_lo
	v_add_f64 v[86:87], v[36:37], v[40:41]
	v_add_f64 v[78:79], v[44:45], v[58:59]
	v_add_f64 v[62:63], v[36:37], -v[44:45]
	v_add_f64 v[108:109], v[20:21], v[52:53]
	v_add_f64 v[76:77], v[20:21], -v[52:53]
	;; [unrolled: 2-line block ×3, first 2 shown]
	v_add_f64 v[110:111], v[20:21], -v[24:25]
	v_add_f64 v[20:21], v[16:17], v[20:21]
	v_add_f64 v[74:75], v[40:41], -v[58:59]
	v_add_f64 v[136:137], v[56:57], v[34:35]
	v_add_f64 v[116:117], v[46:47], v[38:39]
	;; [unrolled: 1-line block ×3, first 2 shown]
	v_add_f64 v[80:81], v[24:25], -v[28:29]
	v_add_f64 v[120:121], v[22:23], v[26:27]
	v_add_f64 v[142:143], v[48:49], v[18:19]
	v_add_f64 v[122:123], v[18:19], v[30:31]
	v_add_f64 v[82:83], v[44:45], -v[36:37]
	v_add_f64 v[84:85], v[58:59], -v[40:41]
	v_add_f64 v[88:89], v[32:33], v[44:45]
	v_add_f64 v[92:93], v[28:29], -v[52:53]
	v_add_f64 v[124:125], v[46:47], -v[34:35]
	v_add_f64 v[128:129], v[18:19], -v[30:31]
	v_add_f64 v[132:133], v[34:35], -v[46:47]
	v_fma_f64 v[78:79], v[78:79], -0.5, v[32:33]
	v_fma_f64 v[32:33], v[86:87], -0.5, v[32:33]
	v_add_f64 v[34:35], v[34:35], -v[42:43]
	v_fma_f64 v[86:87], v[108:109], -0.5, v[16:17]
	v_add_f64 v[114:115], v[52:53], -v[28:29]
	v_add_f64 v[130:131], v[22:23], -v[26:27]
	;; [unrolled: 1-line block ×3, first 2 shown]
	v_lshlrev_b64 v[64:65], 4, v[106:107]
	v_add_f64 v[106:107], v[36:37], -v[40:41]
	v_add_f64 v[44:45], v[44:45], -v[58:59]
	v_fma_f64 v[108:109], v[112:113], -0.5, v[56:57]
	v_fma_f64 v[56:57], v[116:117], -0.5, v[56:57]
	;; [unrolled: 1-line block ×3, first 2 shown]
	v_add_f64 v[126:127], v[38:39], -v[42:43]
	v_fma_f64 v[48:49], v[122:123], -0.5, v[48:49]
	v_fma_f64 v[16:17], v[118:119], -0.5, v[16:17]
	v_add_f64 v[138:139], v[22:23], -v[18:19]
	v_add_f64 v[18:19], v[18:19], -v[22:23]
	v_add_f64 v[20:21], v[24:25], v[20:21]
	v_add_f64 v[46:47], v[46:47], v[136:137]
	;; [unrolled: 1-line block ×3, first 2 shown]
	v_add_f64 v[134:135], v[42:43], -v[38:39]
	v_add_f64 v[112:113], v[30:31], -v[26:27]
	v_add_f64 v[62:63], v[62:63], v[74:75]
	v_add_f64 v[74:75], v[82:83], v[84:85]
	;; [unrolled: 1-line block ×4, first 2 shown]
	v_fma_f64 v[90:91], v[80:81], s[14:15], v[78:79]
	v_add_f64 v[140:141], v[26:27], -v[30:31]
	v_add_f64 v[84:85], v[110:111], v[114:115]
	v_fma_f64 v[78:79], v[80:81], s[16:17], v[78:79]
	v_fma_f64 v[92:93], v[76:77], s[16:17], v[32:33]
	;; [unrolled: 1-line block ×11, first 2 shown]
	v_add_f64 v[24:25], v[124:125], v[126:127]
	v_fma_f64 v[110:111], v[106:107], s[16:17], v[86:87]
	v_fma_f64 v[124:125], v[44:45], s[16:17], v[16:17]
	;; [unrolled: 1-line block ×4, first 2 shown]
	v_add_f64 v[20:21], v[28:29], v[20:21]
	v_add_f64 v[28:29], v[46:47], v[38:39]
	;; [unrolled: 1-line block ×6, first 2 shown]
	v_fma_f64 v[36:37], v[76:77], s[6:7], v[90:91]
	v_add_f64 v[126:127], v[138:139], v[140:141]
	v_fma_f64 v[38:39], v[76:77], s[10:11], v[78:79]
	v_fma_f64 v[40:41], v[80:81], s[6:7], v[92:93]
	;; [unrolled: 1-line block ×15, first 2 shown]
	v_add_f64 v[16:17], v[20:21], v[52:53]
	v_add_f64 v[22:23], v[28:29], v[42:43]
	;; [unrolled: 1-line block ×3, first 2 shown]
	v_add_co_u32 v114, vcc_lo, v60, v64
	v_add_f64 v[18:19], v[18:19], v[58:59]
	v_fma_f64 v[26:27], v[62:63], s[4:5], v[36:37]
	v_fma_f64 v[30:31], v[62:63], s[4:5], v[38:39]
	;; [unrolled: 1-line block ×9, first 2 shown]
	v_add_co_ci_u32_e32 v115, vcc_lo, v61, v65, vcc_lo
	v_fma_f64 v[46:47], v[88:89], s[4:5], v[80:81]
	v_fma_f64 v[44:45], v[112:113], s[4:5], v[108:109]
	;; [unrolled: 1-line block ×7, first 2 shown]
	v_add_co_u32 v48, vcc_lo, v60, v66
	v_add_co_ci_u32_e32 v49, vcc_lo, v61, v67, vcc_lo
	v_add_co_u32 v52, vcc_lo, v60, v68
	v_add_co_ci_u32_e32 v53, vcc_lo, v61, v69, vcc_lo
	;; [unrolled: 2-line block ×3, first 2 shown]
	global_store_dwordx4 v[94:95], v[20:23], off
	global_store_dwordx4 v[96:97], v[56:59], off
	;; [unrolled: 1-line block ×10, first 2 shown]
	s_and_b32 exec_lo, exec_lo, s0
	s_cbranch_execz .LBB0_21
; %bb.20:
	v_add_nc_u32_e32 v48, 0xaa, v176
	v_subrev_nc_u32_e32 v16, 17, v176
	v_add_nc_u32_e32 v59, 0x165, v176
	v_or_b32_e32 v70, 0x220, v176
	v_add_nc_u32_e32 v72, 0x396, v176
	v_add_nc_u32_e32 v71, 0x2db, v176
	v_cndmask_b32_e64 v16, v16, v48, s0
	v_lshlrev_b32_e32 v54, 2, v16
	v_lshlrev_b64 v[16:17], 4, v[54:55]
	v_add_co_u32 v16, vcc_lo, s8, v16
	v_add_co_ci_u32_e32 v17, vcc_lo, s9, v17, vcc_lo
	v_add_co_u32 v28, vcc_lo, 0xaa0, v16
	v_add_co_ci_u32_e32 v29, vcc_lo, 0, v17, vcc_lo
	;; [unrolled: 2-line block ×3, first 2 shown]
	s_clause 0x3
	global_load_dwordx4 v[16:19], v[28:29], off offset:16
	global_load_dwordx4 v[20:23], v[28:29], off offset:32
	;; [unrolled: 1-line block ×4, first 2 shown]
	s_waitcnt vmcnt(3)
	v_mul_f64 v[32:33], v[12:13], v[18:19]
	s_waitcnt vmcnt(2)
	v_mul_f64 v[34:35], v[14:15], v[22:23]
	;; [unrolled: 2-line block ×4, first 2 shown]
	v_mul_f64 v[18:19], v[4:5], v[18:19]
	v_mul_f64 v[22:23], v[6:7], v[22:23]
	;; [unrolled: 1-line block ×4, first 2 shown]
	v_fma_f64 v[4:5], v[4:5], v[16:17], -v[32:33]
	v_fma_f64 v[6:7], v[6:7], v[20:21], -v[34:35]
	;; [unrolled: 1-line block ×4, first 2 shown]
	v_fma_f64 v[12:13], v[12:13], v[16:17], v[18:19]
	v_fma_f64 v[14:15], v[14:15], v[20:21], v[22:23]
	;; [unrolled: 1-line block ×4, first 2 shown]
	v_mad_u64_u32 v[26:27], null, s2, v48, 0
	v_mad_u64_u32 v[28:29], null, s2, v59, 0
	;; [unrolled: 1-line block ×7, first 2 shown]
	v_add_f64 v[18:19], v[4:5], v[6:7]
	v_add_f64 v[38:39], v[0:1], v[2:3]
	;; [unrolled: 1-line block ×3, first 2 shown]
	v_add_f64 v[46:47], v[4:5], -v[6:7]
	v_add_f64 v[22:23], v[12:13], v[14:15]
	v_add_f64 v[42:43], v[8:9], v[10:11]
	;; [unrolled: 1-line block ×3, first 2 shown]
	v_add_f64 v[40:41], v[10:11], -v[16:17]
	v_add_f64 v[44:45], v[12:13], -v[14:15]
	;; [unrolled: 1-line block ×9, first 2 shown]
	v_mov_b32_e32 v27, v48
	v_mov_b32_e32 v29, v68
	v_fma_f64 v[18:19], v[18:19], -0.5, v[0:1]
	v_fma_f64 v[0:1], v[20:21], -0.5, v[0:1]
	v_add_f64 v[20:21], v[2:3], -v[32:33]
	v_fma_f64 v[22:23], v[22:23], -0.5, v[8:9]
	v_add_f64 v[2:3], v[4:5], -v[2:3]
	v_fma_f64 v[8:9], v[24:25], -0.5, v[8:9]
	v_add_f64 v[4:5], v[38:39], v[4:5]
	v_add_f64 v[12:13], v[42:43], v[12:13]
	v_mov_b32_e32 v24, v31
	v_mov_b32_e32 v31, v37
	v_add_f64 v[49:50], v[49:50], v[51:52]
	v_mov_b32_e32 v25, v35
	v_mad_u64_u32 v[69:70], null, s3, v70, v[24:25]
	v_mad_u64_u32 v[24:25], null, s3, v71, v[25:26]
	;; [unrolled: 1-line block ×3, first 2 shown]
	v_fma_f64 v[37:38], v[40:41], s[16:17], v[18:19]
	v_fma_f64 v[18:19], v[40:41], s[14:15], v[18:19]
	;; [unrolled: 1-line block ×8, first 2 shown]
	v_add_f64 v[51:52], v[2:3], v[53:54]
	v_add_f64 v[2:3], v[4:5], v[6:7]
	;; [unrolled: 1-line block ×5, first 2 shown]
	v_mov_b32_e32 v35, v24
	v_lshlrev_b64 v[24:25], 4, v[26:27]
	v_mov_b32_e32 v31, v69
	v_lshlrev_b64 v[26:27], 4, v[28:29]
	v_lshlrev_b64 v[28:29], 4, v[30:31]
	;; [unrolled: 1-line block ×3, first 2 shown]
	v_fma_f64 v[6:7], v[44:45], s[6:7], v[37:38]
	v_fma_f64 v[10:11], v[44:45], s[10:11], v[18:19]
	;; [unrolled: 1-line block ×8, first 2 shown]
	v_mov_b32_e32 v37, v70
	v_add_f64 v[0:1], v[2:3], v[32:33]
	v_add_f64 v[2:3], v[4:5], v[16:17]
	v_lshlrev_b64 v[34:35], 4, v[36:37]
	v_fma_f64 v[4:5], v[49:50], s[4:5], v[6:7]
	v_fma_f64 v[8:9], v[49:50], s[4:5], v[10:11]
	;; [unrolled: 1-line block ×8, first 2 shown]
	v_add_co_u32 v20, vcc_lo, v60, v24
	v_add_co_ci_u32_e32 v21, vcc_lo, v61, v25, vcc_lo
	v_add_co_u32 v22, vcc_lo, v60, v26
	v_add_co_ci_u32_e32 v23, vcc_lo, v61, v27, vcc_lo
	;; [unrolled: 2-line block ×5, first 2 shown]
	global_store_dwordx4 v[20:21], v[0:3], off
	global_store_dwordx4 v[22:23], v[4:7], off
	;; [unrolled: 1-line block ×5, first 2 shown]
.LBB0_21:
	s_endpgm
	.section	.rodata,"a",@progbits
	.p2align	6, 0x0
	.amdhsa_kernel fft_rtc_fwd_len935_factors_17_11_5_wgs_255_tpt_85_halfLds_dp_ip_CI_sbrr_dirReg
		.amdhsa_group_segment_fixed_size 0
		.amdhsa_private_segment_fixed_size 0
		.amdhsa_kernarg_size 88
		.amdhsa_user_sgpr_count 6
		.amdhsa_user_sgpr_private_segment_buffer 1
		.amdhsa_user_sgpr_dispatch_ptr 0
		.amdhsa_user_sgpr_queue_ptr 0
		.amdhsa_user_sgpr_kernarg_segment_ptr 1
		.amdhsa_user_sgpr_dispatch_id 0
		.amdhsa_user_sgpr_flat_scratch_init 0
		.amdhsa_user_sgpr_private_segment_size 0
		.amdhsa_wavefront_size32 1
		.amdhsa_uses_dynamic_stack 0
		.amdhsa_system_sgpr_private_segment_wavefront_offset 0
		.amdhsa_system_sgpr_workgroup_id_x 1
		.amdhsa_system_sgpr_workgroup_id_y 0
		.amdhsa_system_sgpr_workgroup_id_z 0
		.amdhsa_system_sgpr_workgroup_info 0
		.amdhsa_system_vgpr_workitem_id 0
		.amdhsa_next_free_vgpr 252
		.amdhsa_next_free_sgpr 58
		.amdhsa_reserve_vcc 1
		.amdhsa_reserve_flat_scratch 0
		.amdhsa_float_round_mode_32 0
		.amdhsa_float_round_mode_16_64 0
		.amdhsa_float_denorm_mode_32 3
		.amdhsa_float_denorm_mode_16_64 3
		.amdhsa_dx10_clamp 1
		.amdhsa_ieee_mode 1
		.amdhsa_fp16_overflow 0
		.amdhsa_workgroup_processor_mode 1
		.amdhsa_memory_ordered 1
		.amdhsa_forward_progress 0
		.amdhsa_shared_vgpr_count 0
		.amdhsa_exception_fp_ieee_invalid_op 0
		.amdhsa_exception_fp_denorm_src 0
		.amdhsa_exception_fp_ieee_div_zero 0
		.amdhsa_exception_fp_ieee_overflow 0
		.amdhsa_exception_fp_ieee_underflow 0
		.amdhsa_exception_fp_ieee_inexact 0
		.amdhsa_exception_int_div_zero 0
	.end_amdhsa_kernel
	.text
.Lfunc_end0:
	.size	fft_rtc_fwd_len935_factors_17_11_5_wgs_255_tpt_85_halfLds_dp_ip_CI_sbrr_dirReg, .Lfunc_end0-fft_rtc_fwd_len935_factors_17_11_5_wgs_255_tpt_85_halfLds_dp_ip_CI_sbrr_dirReg
                                        ; -- End function
	.section	.AMDGPU.csdata,"",@progbits
; Kernel info:
; codeLenInByte = 16056
; NumSgprs: 60
; NumVgprs: 252
; ScratchSize: 0
; MemoryBound: 1
; FloatMode: 240
; IeeeMode: 1
; LDSByteSize: 0 bytes/workgroup (compile time only)
; SGPRBlocks: 7
; VGPRBlocks: 31
; NumSGPRsForWavesPerEU: 60
; NumVGPRsForWavesPerEU: 252
; Occupancy: 4
; WaveLimiterHint : 1
; COMPUTE_PGM_RSRC2:SCRATCH_EN: 0
; COMPUTE_PGM_RSRC2:USER_SGPR: 6
; COMPUTE_PGM_RSRC2:TRAP_HANDLER: 0
; COMPUTE_PGM_RSRC2:TGID_X_EN: 1
; COMPUTE_PGM_RSRC2:TGID_Y_EN: 0
; COMPUTE_PGM_RSRC2:TGID_Z_EN: 0
; COMPUTE_PGM_RSRC2:TIDIG_COMP_CNT: 0
	.text
	.p2alignl 6, 3214868480
	.fill 48, 4, 3214868480
	.type	__hip_cuid_c3a4c9139eff3952,@object ; @__hip_cuid_c3a4c9139eff3952
	.section	.bss,"aw",@nobits
	.globl	__hip_cuid_c3a4c9139eff3952
__hip_cuid_c3a4c9139eff3952:
	.byte	0                               ; 0x0
	.size	__hip_cuid_c3a4c9139eff3952, 1

	.ident	"AMD clang version 19.0.0git (https://github.com/RadeonOpenCompute/llvm-project roc-6.4.0 25133 c7fe45cf4b819c5991fe208aaa96edf142730f1d)"
	.section	".note.GNU-stack","",@progbits
	.addrsig
	.addrsig_sym __hip_cuid_c3a4c9139eff3952
	.amdgpu_metadata
---
amdhsa.kernels:
  - .args:
      - .actual_access:  read_only
        .address_space:  global
        .offset:         0
        .size:           8
        .value_kind:     global_buffer
      - .offset:         8
        .size:           8
        .value_kind:     by_value
      - .actual_access:  read_only
        .address_space:  global
        .offset:         16
        .size:           8
        .value_kind:     global_buffer
      - .actual_access:  read_only
        .address_space:  global
        .offset:         24
        .size:           8
        .value_kind:     global_buffer
      - .offset:         32
        .size:           8
        .value_kind:     by_value
      - .actual_access:  read_only
        .address_space:  global
        .offset:         40
        .size:           8
        .value_kind:     global_buffer
      - .actual_access:  read_only
        .address_space:  global
        .offset:         48
        .size:           8
        .value_kind:     global_buffer
      - .offset:         56
        .size:           4
        .value_kind:     by_value
      - .actual_access:  read_only
        .address_space:  global
        .offset:         64
        .size:           8
        .value_kind:     global_buffer
      - .actual_access:  read_only
        .address_space:  global
        .offset:         72
        .size:           8
        .value_kind:     global_buffer
      - .address_space:  global
        .offset:         80
        .size:           8
        .value_kind:     global_buffer
    .group_segment_fixed_size: 0
    .kernarg_segment_align: 8
    .kernarg_segment_size: 88
    .language:       OpenCL C
    .language_version:
      - 2
      - 0
    .max_flat_workgroup_size: 255
    .name:           fft_rtc_fwd_len935_factors_17_11_5_wgs_255_tpt_85_halfLds_dp_ip_CI_sbrr_dirReg
    .private_segment_fixed_size: 0
    .sgpr_count:     60
    .sgpr_spill_count: 0
    .symbol:         fft_rtc_fwd_len935_factors_17_11_5_wgs_255_tpt_85_halfLds_dp_ip_CI_sbrr_dirReg.kd
    .uniform_work_group_size: 1
    .uses_dynamic_stack: false
    .vgpr_count:     252
    .vgpr_spill_count: 0
    .wavefront_size: 32
    .workgroup_processor_mode: 1
amdhsa.target:   amdgcn-amd-amdhsa--gfx1030
amdhsa.version:
  - 1
  - 2
...

	.end_amdgpu_metadata
